;; amdgpu-corpus repo=ROCm/rocSOLVER kind=compiled arch=gfx90a opt=O3
	.text
	.amdgcn_target "amdgcn-amd-amdhsa--gfx90a"
	.amdhsa_code_object_version 6
	.section	.text._ZN9rocsolver6v33100L16mfma_gemm_kernelI19rocblas_complex_numIfEiPKS3_PS3_S6_S6_EEv18rocblas_operation_S7_T0_S8_S8_T1_T2_lS8_S8_lT3_lS8_S8_lS9_T4_lS8_S8_l,"axG",@progbits,_ZN9rocsolver6v33100L16mfma_gemm_kernelI19rocblas_complex_numIfEiPKS3_PS3_S6_S6_EEv18rocblas_operation_S7_T0_S8_S8_T1_T2_lS8_S8_lT3_lS8_S8_lS9_T4_lS8_S8_l,comdat
	.globl	_ZN9rocsolver6v33100L16mfma_gemm_kernelI19rocblas_complex_numIfEiPKS3_PS3_S6_S6_EEv18rocblas_operation_S7_T0_S8_S8_T1_T2_lS8_S8_lT3_lS8_S8_lS9_T4_lS8_S8_l ; -- Begin function _ZN9rocsolver6v33100L16mfma_gemm_kernelI19rocblas_complex_numIfEiPKS3_PS3_S6_S6_EEv18rocblas_operation_S7_T0_S8_S8_T1_T2_lS8_S8_lT3_lS8_S8_lS9_T4_lS8_S8_l
	.p2align	8
	.type	_ZN9rocsolver6v33100L16mfma_gemm_kernelI19rocblas_complex_numIfEiPKS3_PS3_S6_S6_EEv18rocblas_operation_S7_T0_S8_S8_T1_T2_lS8_S8_lT3_lS8_S8_lS9_T4_lS8_S8_l,@function
_ZN9rocsolver6v33100L16mfma_gemm_kernelI19rocblas_complex_numIfEiPKS3_PS3_S6_S6_EEv18rocblas_operation_S7_T0_S8_S8_T1_T2_lS8_S8_lT3_lS8_S8_lS9_T4_lS8_S8_l: ; @_ZN9rocsolver6v33100L16mfma_gemm_kernelI19rocblas_complex_numIfEiPKS3_PS3_S6_S6_EEv18rocblas_operation_S7_T0_S8_S8_T1_T2_lS8_S8_lT3_lS8_S8_lS9_T4_lS8_S8_l
; %bb.0:
	s_load_dword s0, s[6:7], 0x94
	s_load_dwordx4 s[28:31], s[6:7], 0x0
	v_and_b32_e32 v17, 0x3ff, v0
	v_bfe_u32 v1, v0, 10, 10
	v_lshrrev_b32_e32 v2, 6, v17
	s_waitcnt lgkmcnt(0)
	s_lshr_b32 s1, s0, 16
	s_bfe_u32 s0, s0, 0xa0006
	s_mul_i32 s8, s8, s0
	s_mul_i32 s9, s9, s1
	v_add_lshl_u32 v18, s8, v2, 4
	v_add_u32_e32 v2, s9, v1
	v_lshlrev_b32_e32 v19, 4, v2
	v_cmp_gt_i32_e32 vcc, s30, v18
	v_cmp_gt_i32_e64 s[0:1], s31, v19
	s_and_b64 s[0:1], vcc, s[0:1]
	s_and_saveexec_b64 s[2:3], s[0:1]
	s_cbranch_execz .LBB0_37
; %bb.1:
	s_load_dwordx2 s[8:9], s[4:5], 0x4
	s_load_dword s33, s[6:7], 0x10
	s_load_dwordx4 s[0:3], s[6:7], 0x18
	s_load_dwordx8 s[12:19], s[6:7], 0x58
	v_bfe_u32 v0, v0, 20, 10
	s_waitcnt lgkmcnt(0)
	s_lshr_b32 s4, s8, 16
	s_mul_i32 s4, s4, s9
	v_mul_lo_u32 v2, s4, v17
	s_ashr_i32 s4, s30, 31
	s_lshr_b32 s4, s4, 28
	s_add_i32 s4, s30, s4
	s_and_b32 s4, s4, -16
	v_mul_u32_u24_e32 v1, s9, v1
	s_sub_i32 s4, s30, s4
	v_add3_u32 v0, v2, v1, v0
	v_mov_b32_e32 v1, s4
	s_ashr_i32 s4, s31, 31
	s_lshr_b32 s4, s4, 28
	v_mul_lo_u32 v24, v0, 20
	v_add_u32_e32 v0, 16, v18
	s_add_i32 s4, s31, s4
	v_cmp_lt_i32_e32 vcc, s30, v0
	v_add_u32_e32 v0, 16, v19
	s_and_b32 s4, s4, -16
	v_cndmask_b32_e32 v16, 16, v1, vcc
	s_sub_i32 s4, s31, s4
	v_cmp_lt_i32_e32 vcc, s31, v0
	s_load_dwordx2 s[34:35], s[0:1], 0x0
	s_load_dwordx2 s[30:31], s[14:15], 0x0
	v_mov_b32_e32 v1, s4
	v_cndmask_b32_e32 v20, 16, v1, vcc
	s_ashr_i32 s11, s10, 31
	v_bfe_u32 v21, v17, 2, 4
	v_and_b32_e32 v22, 3, v17
	s_cmp_lt_i32 s33, 1
	v_mov_b32_e32 v1, 0
	s_mov_b32 s40, 0
	v_cmp_lt_i32_e64 s[0:1], v21, v20
	v_mbcnt_lo_u32_b32 v23, -1, 0
	v_mov_b32_e32 v2, 0
	v_mov_b32_e32 v13, 0
	;; [unrolled: 1-line block ×7, first 2 shown]
	ds_write2_b32 v24, v1, v1 offset0:2 offset1:3
	ds_write2_b32 v24, v1, v1 offset1:1
	ds_write_b32 v24, v1 offset:16
	s_cbranch_scc1 .LBB0_29
; %bb.2:
	s_load_dwordx8 s[20:27], s[6:7], 0x28
	s_load_dwordx4 s[36:39], s[6:7], 0x48
	v_and_b32_e32 v2, 63, v17
	v_lshrrev_b32_e32 v29, 4, v2
	s_waitcnt lgkmcnt(0)
	s_mul_i32 s4, s10, s25
	s_mul_hi_u32 s5, s10, s24
	s_mul_i32 s8, s11, s24
	s_add_i32 s4, s5, s4
	s_add_i32 s5, s4, s8
	s_mul_i32 s4, s10, s24
	s_lshl_b64 s[4:5], s[4:5], 3
	s_add_u32 s4, s2, s4
	s_addc_u32 s5, s3, s5
	s_lshl_b64 s[2:3], s[20:21], 3
	s_add_u32 s4, s4, s2
	s_addc_u32 s5, s5, s3
	s_mul_i32 s2, s10, s13
	s_mul_hi_u32 s3, s10, s12
	s_add_i32 s2, s3, s2
	s_mul_i32 s3, s11, s12
	s_add_i32 s3, s2, s3
	s_mul_i32 s2, s10, s12
	s_lshl_b64 s[2:3], s[2:3], 3
	s_add_u32 s8, s26, s2
	s_addc_u32 s9, s27, s3
	s_lshl_b64 s[2:3], s[36:37], 3
	s_add_u32 s2, s8, s2
	s_addc_u32 s3, s9, s3
	s_cmpk_lg_i32 s28, 0x6f
	s_cselect_b64 s[12:13], -1, 0
	s_cmpk_eq_i32 s28, 0x6f
	s_cselect_b32 s8, s22, s23
	v_mul_lo_u32 v0, v18, s8
	v_ashrrev_i32_e32 v1, 31, v0
	s_cmpk_lg_i32 s29, 0x6f
	v_lshlrev_b64 v[0:1], 3, v[0:1]
	s_cselect_b64 s[14:15], -1, 0
	s_cmpk_eq_i32 s29, 0x6f
	v_add_co_u32_e32 v25, vcc, s4, v0
	s_cselect_b32 s4, s39, s38
	v_mov_b32_e32 v3, s5
	v_mul_lo_u32 v0, v19, s4
	v_addc_co_u32_e32 v26, vcc, v3, v1, vcc
	v_ashrrev_i32_e32 v1, 31, v0
	v_lshlrev_b64 v[0:1], 3, v[0:1]
	v_mov_b32_e32 v3, s3
	v_add_co_u32_e32 v27, vcc, s2, v0
	v_addc_co_u32_e32 v28, vcc, v3, v1, vcc
	v_and_b32_e32 v1, 15, v17
	v_mul_lo_u32 v0, v1, s22
	s_cmpk_eq_i32 s28, 0x71
	v_mad_u64_u32 v[4:5], s[26:27], s23, v29, v[0:1]
	v_mul_lo_u32 v0, s22, v22
	s_cselect_b64 s[20:21], -1, 0
	s_cmpk_eq_i32 s29, 0x71
	v_mad_u64_u32 v[6:7], s[26:27], v21, s23, v[0:1]
	v_mul_lo_u32 v0, s38, v22
	v_lshl_or_b32 v3, v1, 2, v29
	v_cmp_lt_i32_e64 s[4:5], v1, v16
	v_cmp_lt_i32_e64 s[8:9], v1, v20
	v_mul_lo_u32 v2, v1, s38
	s_cselect_b64 s[24:25], -1, 0
	s_lshl_b32 s28, s23, 2
	s_lshl_b32 s29, s22, 2
	v_mad_u64_u32 v[8:9], s[22:23], v21, s39, v[0:1]
	v_mbcnt_hi_u32_b32 v1, -1, v23
	v_mov_b32_e32 v0, 0
	v_and_or_b32 v1, v1, 64, v3
	v_cmp_lt_i32_e64 s[2:3], v21, v16
	s_lshl_b32 s36, s38, 2
	v_mad_u64_u32 v[10:11], s[22:23], s39, v29, v[2:3]
	s_lshl_b32 s37, s39, 2
	v_lshlrev_b32_e32 v30, 2, v1
	v_mov_b32_e32 v3, v0
	v_mov_b32_e32 v2, v0
	;; [unrolled: 1-line block ×3, first 2 shown]
	s_branch .LBB0_6
.LBB0_3:                                ;   in Loop: Header=BB0_6 Depth=1
	s_or_b64 exec, exec, s[26:27]
.LBB0_4:                                ;   in Loop: Header=BB0_6 Depth=1
	s_or_b64 exec, exec, s[22:23]
	s_waitcnt vmcnt(0)
	ds_bpermute_b32 v14, v30, v14
	ds_bpermute_b32 v15, v30, v15
.LBB0_5:                                ;   in Loop: Header=BB0_6 Depth=1
	s_waitcnt vmcnt(0) lgkmcnt(0)
	v_cndmask_b32_e64 v7, v13, -v13, s[20:21]
	v_cndmask_b32_e64 v5, v15, -v15, s[24:25]
	v_mfma_f32_16x16x4f32 v[32:35], v12, v14, 0
	s_add_i32 s40, s40, 4
	v_add_u32_e32 v4, s28, v4
	v_add_u32_e32 v6, s29, v6
	;; [unrolled: 1-line block ×3, first 2 shown]
	s_cmp_ge_i32 s40, s33
	v_add_u32_e32 v10, s37, v10
	v_mfma_f32_16x16x4f32 v[40:43], v7, v5, 0
	v_mfma_f32_16x16x4f32 v[36:39], v12, v5, 0
	ds_read2_b32 v[12:13], v24 offset1:1
	ds_read2_b32 v[44:45], v24 offset0:3 offset1:4
	ds_read2_b32 v[46:47], v24 offset0:2 offset1:3
	ds_read2_b32 v[48:49], v24 offset0:1 offset1:2
	s_nop 5
	v_sub_f32_e32 v35, v35, v43
	v_sub_f32_e32 v34, v34, v42
	;; [unrolled: 1-line block ×4, first 2 shown]
	s_waitcnt lgkmcnt(1)
	v_mov_b32_e32 v13, v46
	v_pk_add_f32 v[12:13], v[12:13], v[32:33]
	v_pk_add_f32 v[0:1], v[0:1], v[34:35]
	v_mfma_f32_16x16x4f32 v[32:35], v7, v14, 0
	s_waitcnt lgkmcnt(0)
	v_mov_b32_e32 v49, v44
	s_nop 7
	s_nop 0
	v_pk_add_f32 v[14:15], v[38:39], v[34:35]
	v_pk_add_f32 v[32:33], v[36:37], v[32:33]
	;; [unrolled: 1-line block ×4, first 2 shown]
	ds_write2_b32 v24, v12, v14 offset1:1
	v_mov_b32_e32 v12, v13
	v_mov_b32_e32 v5, v15
	ds_write2_b32 v24, v13, v15 offset0:2 offset1:3
	ds_write_b32 v24, v0 offset:16
	s_cbranch_scc1 .LBB0_28
.LBB0_6:                                ; =>This Inner Loop Header: Depth=1
	s_and_b64 vcc, exec, s[12:13]
	s_cbranch_vccz .LBB0_18
; %bb.7:                                ;   in Loop: Header=BB0_6 Depth=1
	v_mov_b32_e32 v12, 0
	v_mov_b32_e32 v13, 0
	s_and_saveexec_b64 s[22:23], s[2:3]
	s_cbranch_execz .LBB0_11
; %bb.8:                                ;   in Loop: Header=BB0_6 Depth=1
	v_add_u32_e32 v5, s40, v22
	v_cmp_gt_i32_e32 vcc, s33, v5
	v_mov_b32_e32 v13, 0
	v_mov_b32_e32 v12, 0
	s_and_saveexec_b64 s[26:27], vcc
	s_cbranch_execz .LBB0_10
; %bb.9:                                ;   in Loop: Header=BB0_6 Depth=1
	v_ashrrev_i32_e32 v7, 31, v6
	v_lshlrev_b64 v[12:13], 3, v[6:7]
	v_add_co_u32_e32 v12, vcc, v25, v12
	v_addc_co_u32_e32 v13, vcc, v26, v13, vcc
	global_load_dwordx2 v[12:13], v[12:13], off
.LBB0_10:                               ;   in Loop: Header=BB0_6 Depth=1
	s_or_b64 exec, exec, s[26:27]
.LBB0_11:                               ;   in Loop: Header=BB0_6 Depth=1
	s_or_b64 exec, exec, s[22:23]
	s_waitcnt vmcnt(0)
	ds_bpermute_b32 v12, v30, v12
	ds_bpermute_b32 v13, v30, v13
.LBB0_12:                               ;   in Loop: Header=BB0_6 Depth=1
	s_and_b64 vcc, exec, s[14:15]
	s_cbranch_vccz .LBB0_24
.LBB0_13:                               ;   in Loop: Header=BB0_6 Depth=1
	v_mov_b32_e32 v15, 0
	v_mov_b32_e32 v14, 0
	s_and_saveexec_b64 s[22:23], s[8:9]
	s_cbranch_execz .LBB0_17
; %bb.14:                               ;   in Loop: Header=BB0_6 Depth=1
	v_add_u32_e32 v5, s40, v29
	v_cmp_gt_i32_e32 vcc, s33, v5
	v_mov_b32_e32 v15, 0
	v_mov_b32_e32 v14, 0
	s_and_saveexec_b64 s[26:27], vcc
	s_cbranch_execz .LBB0_16
; %bb.15:                               ;   in Loop: Header=BB0_6 Depth=1
	v_ashrrev_i32_e32 v11, 31, v10
	v_lshlrev_b64 v[14:15], 3, v[10:11]
	v_add_co_u32_e32 v14, vcc, v27, v14
	v_addc_co_u32_e32 v15, vcc, v28, v15, vcc
	global_load_dwordx2 v[14:15], v[14:15], off
.LBB0_16:                               ;   in Loop: Header=BB0_6 Depth=1
	s_or_b64 exec, exec, s[26:27]
.LBB0_17:                               ;   in Loop: Header=BB0_6 Depth=1
	s_or_b64 exec, exec, s[22:23]
	s_cbranch_execnz .LBB0_5
	s_branch .LBB0_25
.LBB0_18:                               ;   in Loop: Header=BB0_6 Depth=1
                                        ; implicit-def: $vgpr13
	s_cbranch_execz .LBB0_12
; %bb.19:                               ;   in Loop: Header=BB0_6 Depth=1
	s_waitcnt lgkmcnt(0)
	v_mov_b32_e32 v13, 0
	v_mov_b32_e32 v12, 0
	s_and_saveexec_b64 s[22:23], s[4:5]
	s_cbranch_execz .LBB0_23
; %bb.20:                               ;   in Loop: Header=BB0_6 Depth=1
	v_add_u32_e32 v5, s40, v29
	v_cmp_gt_i32_e32 vcc, s33, v5
	v_mov_b32_e32 v13, 0
	v_mov_b32_e32 v12, 0
	s_and_saveexec_b64 s[26:27], vcc
	s_cbranch_execz .LBB0_22
; %bb.21:                               ;   in Loop: Header=BB0_6 Depth=1
	v_ashrrev_i32_e32 v5, 31, v4
	v_lshlrev_b64 v[12:13], 3, v[4:5]
	v_add_co_u32_e32 v12, vcc, v25, v12
	v_addc_co_u32_e32 v13, vcc, v26, v13, vcc
	global_load_dwordx2 v[12:13], v[12:13], off
.LBB0_22:                               ;   in Loop: Header=BB0_6 Depth=1
	s_or_b64 exec, exec, s[26:27]
.LBB0_23:                               ;   in Loop: Header=BB0_6 Depth=1
	s_or_b64 exec, exec, s[22:23]
	s_and_b64 vcc, exec, s[14:15]
	s_cbranch_vccnz .LBB0_13
.LBB0_24:                               ;   in Loop: Header=BB0_6 Depth=1
                                        ; implicit-def: $vgpr15
.LBB0_25:                               ;   in Loop: Header=BB0_6 Depth=1
	s_waitcnt vmcnt(0)
	v_mov_b32_e32 v14, 0
	v_mov_b32_e32 v15, 0
	s_and_saveexec_b64 s[22:23], s[0:1]
	s_cbranch_execz .LBB0_4
; %bb.26:                               ;   in Loop: Header=BB0_6 Depth=1
	v_add_u32_e32 v5, s40, v22
	v_cmp_gt_i32_e32 vcc, s33, v5
	v_mov_b32_e32 v15, 0
	v_mov_b32_e32 v14, 0
	s_and_saveexec_b64 s[26:27], vcc
	s_cbranch_execz .LBB0_3
; %bb.27:                               ;   in Loop: Header=BB0_6 Depth=1
	v_ashrrev_i32_e32 v9, 31, v8
	v_lshlrev_b64 v[14:15], 3, v[8:9]
	v_add_co_u32_e32 v14, vcc, v27, v14
	v_addc_co_u32_e32 v15, vcc, v28, v15, vcc
	global_load_dwordx2 v[14:15], v[14:15], off
	s_branch .LBB0_3
.LBB0_28:
	ds_read_b32 v4, v24
.LBB0_29:
	s_load_dwordx4 s[4:7], s[6:7], 0x78
	v_mbcnt_hi_u32_b32 v9, -1, v23
	v_and_b32_e32 v9, 64, v9
	s_waitcnt lgkmcnt(0)
	s_mul_i32 s1, s10, s7
	s_mul_hi_u32 s2, s10, s6
	s_mul_i32 s3, s11, s6
	s_add_i32 s1, s2, s1
	s_mul_i32 s0, s10, s6
	s_add_i32 s1, s1, s3
	s_lshl_b64 s[0:1], s[0:1], 3
	s_add_u32 s2, s16, s0
	s_addc_u32 s3, s17, s1
	s_lshl_b64 s[0:1], s[18:19], 3
	s_add_u32 s2, s2, s0
	v_mul_lo_u32 v6, v18, s4
	s_addc_u32 s3, s3, s1
	v_mad_u64_u32 v[6:7], s[0:1], v19, s5, v[6:7]
	v_ashrrev_i32_e32 v7, 31, v6
	v_lshlrev_b64 v[6:7], 3, v[6:7]
	v_mov_b32_e32 v8, s3
	v_add_co_u32_e32 v5, vcc, s2, v6
	v_addc_co_u32_e32 v6, vcc, v8, v7, vcc
	v_lshlrev_b32_e32 v8, 4, v17
	v_and_b32_e32 v8, 48, v8
	v_or3_b32 v8, v8, v9, v21
	v_lshlrev_b32_e32 v8, 2, v8
	ds_bpermute_b32 v9, v8, v4
	ds_bpermute_b32 v10, v8, v14
	v_lshlrev_b32_e32 v7, 2, v22
	v_cmp_lt_i32_e32 vcc, v21, v20
	v_cmp_lt_i32_e64 s[0:1], v7, v16
	v_mul_lo_u32 v4, v21, s5
	s_and_b64 s[0:1], vcc, s[0:1]
	s_and_saveexec_b64 s[2:3], s[0:1]
	s_cbranch_execz .LBB0_31
; %bb.30:
	v_mad_u64_u32 v[18:19], s[0:1], v7, s4, v[4:5]
	v_ashrrev_i32_e32 v19, 31, v18
	v_lshlrev_b64 v[18:19], 3, v[18:19]
	v_add_co_u32_e64 v18, s[0:1], v5, v18
	v_addc_co_u32_e64 v19, s[0:1], v6, v19, s[0:1]
	global_load_dwordx2 v[20:21], v[18:19], off
	s_waitcnt lgkmcnt(0)
	v_mul_f32_e32 v11, s35, v10
	v_mul_f32_e32 v12, s35, v9
	v_fma_f32 v9, s34, v9, -v11
	v_fmac_f32_e32 v12, s34, v10
	s_waitcnt vmcnt(0)
	v_mul_f32_e32 v10, s31, v21
	v_mul_f32_e32 v11, s30, v21
	v_fma_f32 v10, s30, v20, -v10
	v_fmac_f32_e32 v11, s31, v20
	v_add_f32_e32 v10, v9, v10
	v_add_f32_e32 v11, v12, v11
	global_store_dwordx2 v[18:19], v[10:11], off
.LBB0_31:
	s_or_b64 exec, exec, s[2:3]
	s_waitcnt lgkmcnt(1)
	ds_bpermute_b32 v9, v8, v13
	s_waitcnt lgkmcnt(1)
	ds_bpermute_b32 v10, v8, v15
	v_or_b32_e32 v11, 1, v7
	v_cmp_lt_i32_e64 s[0:1], v11, v16
	s_and_b64 s[0:1], vcc, s[0:1]
	s_and_saveexec_b64 s[2:3], s[0:1]
	s_cbranch_execz .LBB0_33
; %bb.32:
	v_mad_u64_u32 v[12:13], s[0:1], v11, s4, v[4:5]
	v_ashrrev_i32_e32 v13, 31, v12
	v_lshlrev_b64 v[12:13], 3, v[12:13]
	v_add_co_u32_e64 v12, s[0:1], v5, v12
	v_addc_co_u32_e64 v13, s[0:1], v6, v13, s[0:1]
	global_load_dwordx2 v[14:15], v[12:13], off
	s_waitcnt lgkmcnt(0)
	v_mul_f32_e32 v11, s35, v10
	v_mul_f32_e32 v17, s34, v10
	v_fma_f32 v10, s34, v9, -v11
	v_fmac_f32_e32 v17, s35, v9
	s_waitcnt vmcnt(0)
	v_mul_f32_e32 v9, s31, v15
	v_mul_f32_e32 v11, s30, v15
	v_fma_f32 v9, s30, v14, -v9
	v_fmac_f32_e32 v11, s31, v14
	v_add_f32_e32 v10, v10, v9
	v_add_f32_e32 v11, v17, v11
	global_store_dwordx2 v[12:13], v[10:11], off
.LBB0_33:
	s_or_b64 exec, exec, s[2:3]
	ds_bpermute_b32 v0, v8, v0
	ds_bpermute_b32 v2, v8, v2
	s_waitcnt lgkmcnt(3)
	v_or_b32_e32 v9, 2, v7
	v_cmp_lt_i32_e64 s[0:1], v9, v16
	s_and_b64 s[0:1], vcc, s[0:1]
	s_and_saveexec_b64 s[2:3], s[0:1]
	s_cbranch_execz .LBB0_35
; %bb.34:
	s_waitcnt lgkmcnt(2)
	v_mad_u64_u32 v[10:11], s[0:1], v9, s4, v[4:5]
	v_ashrrev_i32_e32 v11, 31, v10
	v_lshlrev_b64 v[10:11], 3, v[10:11]
	v_add_co_u32_e64 v10, s[0:1], v5, v10
	v_addc_co_u32_e64 v11, s[0:1], v6, v11, s[0:1]
	global_load_dwordx2 v[12:13], v[10:11], off
	s_waitcnt lgkmcnt(0)
	v_mul_f32_e32 v9, s35, v2
	v_mul_f32_e32 v2, s34, v2
	v_fma_f32 v9, s34, v0, -v9
	v_fmac_f32_e32 v2, s35, v0
	s_waitcnt vmcnt(0)
	v_mul_f32_e32 v0, s31, v13
	v_mul_f32_e32 v13, s30, v13
	v_fma_f32 v0, s30, v12, -v0
	v_fmac_f32_e32 v13, s31, v12
	v_add_f32_e32 v12, v9, v0
	v_add_f32_e32 v13, v2, v13
	global_store_dwordx2 v[10:11], v[12:13], off
.LBB0_35:
	s_or_b64 exec, exec, s[2:3]
	s_waitcnt lgkmcnt(1)
	ds_bpermute_b32 v0, v8, v1
	ds_bpermute_b32 v1, v8, v3
	s_waitcnt lgkmcnt(2)
	v_or_b32_e32 v2, 3, v7
	v_cmp_lt_i32_e64 s[0:1], v2, v16
	s_and_b64 s[0:1], vcc, s[0:1]
	s_and_b64 exec, exec, s[0:1]
	s_cbranch_execz .LBB0_37
; %bb.36:
	v_mad_u64_u32 v[2:3], s[0:1], v2, s4, v[4:5]
	v_ashrrev_i32_e32 v3, 31, v2
	v_lshlrev_b64 v[2:3], 3, v[2:3]
	v_add_co_u32_e32 v2, vcc, v5, v2
	v_addc_co_u32_e32 v3, vcc, v6, v3, vcc
	global_load_dwordx2 v[4:5], v[2:3], off
	s_waitcnt lgkmcnt(0)
	v_mul_f32_e32 v6, s35, v1
	v_mul_f32_e32 v1, s34, v1
	v_fma_f32 v6, s34, v0, -v6
	v_fmac_f32_e32 v1, s35, v0
	s_waitcnt vmcnt(0)
	v_mul_f32_e32 v0, s31, v5
	v_mul_f32_e32 v5, s30, v5
	v_fma_f32 v0, s30, v4, -v0
	v_fmac_f32_e32 v5, s31, v4
	v_add_f32_e32 v0, v6, v0
	v_add_f32_e32 v1, v1, v5
	global_store_dwordx2 v[2:3], v[0:1], off
.LBB0_37:
	s_endpgm
	.section	.rodata,"a",@progbits
	.p2align	6, 0x0
	.amdhsa_kernel _ZN9rocsolver6v33100L16mfma_gemm_kernelI19rocblas_complex_numIfEiPKS3_PS3_S6_S6_EEv18rocblas_operation_S7_T0_S8_S8_T1_T2_lS8_S8_lT3_lS8_S8_lS9_T4_lS8_S8_l
		.amdhsa_group_segment_fixed_size 20480
		.amdhsa_private_segment_fixed_size 0
		.amdhsa_kernarg_size 392
		.amdhsa_user_sgpr_count 8
		.amdhsa_user_sgpr_private_segment_buffer 1
		.amdhsa_user_sgpr_dispatch_ptr 1
		.amdhsa_user_sgpr_queue_ptr 0
		.amdhsa_user_sgpr_kernarg_segment_ptr 1
		.amdhsa_user_sgpr_dispatch_id 0
		.amdhsa_user_sgpr_flat_scratch_init 0
		.amdhsa_user_sgpr_kernarg_preload_length 0
		.amdhsa_user_sgpr_kernarg_preload_offset 0
		.amdhsa_user_sgpr_private_segment_size 0
		.amdhsa_uses_dynamic_stack 0
		.amdhsa_system_sgpr_private_segment_wavefront_offset 0
		.amdhsa_system_sgpr_workgroup_id_x 1
		.amdhsa_system_sgpr_workgroup_id_y 1
		.amdhsa_system_sgpr_workgroup_id_z 1
		.amdhsa_system_sgpr_workgroup_info 0
		.amdhsa_system_vgpr_workitem_id 2
		.amdhsa_next_free_vgpr 50
		.amdhsa_next_free_sgpr 41
		.amdhsa_accum_offset 52
		.amdhsa_reserve_vcc 1
		.amdhsa_reserve_flat_scratch 0
		.amdhsa_float_round_mode_32 0
		.amdhsa_float_round_mode_16_64 0
		.amdhsa_float_denorm_mode_32 3
		.amdhsa_float_denorm_mode_16_64 3
		.amdhsa_dx10_clamp 1
		.amdhsa_ieee_mode 1
		.amdhsa_fp16_overflow 0
		.amdhsa_tg_split 0
		.amdhsa_exception_fp_ieee_invalid_op 0
		.amdhsa_exception_fp_denorm_src 0
		.amdhsa_exception_fp_ieee_div_zero 0
		.amdhsa_exception_fp_ieee_overflow 0
		.amdhsa_exception_fp_ieee_underflow 0
		.amdhsa_exception_fp_ieee_inexact 0
		.amdhsa_exception_int_div_zero 0
	.end_amdhsa_kernel
	.section	.text._ZN9rocsolver6v33100L16mfma_gemm_kernelI19rocblas_complex_numIfEiPKS3_PS3_S6_S6_EEv18rocblas_operation_S7_T0_S8_S8_T1_T2_lS8_S8_lT3_lS8_S8_lS9_T4_lS8_S8_l,"axG",@progbits,_ZN9rocsolver6v33100L16mfma_gemm_kernelI19rocblas_complex_numIfEiPKS3_PS3_S6_S6_EEv18rocblas_operation_S7_T0_S8_S8_T1_T2_lS8_S8_lT3_lS8_S8_lS9_T4_lS8_S8_l,comdat
.Lfunc_end0:
	.size	_ZN9rocsolver6v33100L16mfma_gemm_kernelI19rocblas_complex_numIfEiPKS3_PS3_S6_S6_EEv18rocblas_operation_S7_T0_S8_S8_T1_T2_lS8_S8_lT3_lS8_S8_lS9_T4_lS8_S8_l, .Lfunc_end0-_ZN9rocsolver6v33100L16mfma_gemm_kernelI19rocblas_complex_numIfEiPKS3_PS3_S6_S6_EEv18rocblas_operation_S7_T0_S8_S8_T1_T2_lS8_S8_lT3_lS8_S8_lS9_T4_lS8_S8_l
                                        ; -- End function
	.section	.AMDGPU.csdata,"",@progbits
; Kernel info:
; codeLenInByte = 2164
; NumSgprs: 45
; NumVgprs: 50
; NumAgprs: 0
; TotalNumVgprs: 50
; ScratchSize: 0
; MemoryBound: 0
; FloatMode: 240
; IeeeMode: 1
; LDSByteSize: 20480 bytes/workgroup (compile time only)
; SGPRBlocks: 5
; VGPRBlocks: 6
; NumSGPRsForWavesPerEU: 45
; NumVGPRsForWavesPerEU: 50
; AccumOffset: 52
; Occupancy: 8
; WaveLimiterHint : 0
; COMPUTE_PGM_RSRC2:SCRATCH_EN: 0
; COMPUTE_PGM_RSRC2:USER_SGPR: 8
; COMPUTE_PGM_RSRC2:TRAP_HANDLER: 0
; COMPUTE_PGM_RSRC2:TGID_X_EN: 1
; COMPUTE_PGM_RSRC2:TGID_Y_EN: 1
; COMPUTE_PGM_RSRC2:TGID_Z_EN: 1
; COMPUTE_PGM_RSRC2:TIDIG_COMP_CNT: 2
; COMPUTE_PGM_RSRC3_GFX90A:ACCUM_OFFSET: 12
; COMPUTE_PGM_RSRC3_GFX90A:TG_SPLIT: 0
	.section	.text._ZN9rocsolver6v33100L16mfma_gemm_kernelI19rocblas_complex_numIfEiS3_PS3_S4_S4_EEv18rocblas_operation_S5_T0_S6_S6_T1_T2_lS6_S6_lT3_lS6_S6_lS7_T4_lS6_S6_l,"axG",@progbits,_ZN9rocsolver6v33100L16mfma_gemm_kernelI19rocblas_complex_numIfEiS3_PS3_S4_S4_EEv18rocblas_operation_S5_T0_S6_S6_T1_T2_lS6_S6_lT3_lS6_S6_lS7_T4_lS6_S6_l,comdat
	.globl	_ZN9rocsolver6v33100L16mfma_gemm_kernelI19rocblas_complex_numIfEiS3_PS3_S4_S4_EEv18rocblas_operation_S5_T0_S6_S6_T1_T2_lS6_S6_lT3_lS6_S6_lS7_T4_lS6_S6_l ; -- Begin function _ZN9rocsolver6v33100L16mfma_gemm_kernelI19rocblas_complex_numIfEiS3_PS3_S4_S4_EEv18rocblas_operation_S5_T0_S6_S6_T1_T2_lS6_S6_lT3_lS6_S6_lS7_T4_lS6_S6_l
	.p2align	8
	.type	_ZN9rocsolver6v33100L16mfma_gemm_kernelI19rocblas_complex_numIfEiS3_PS3_S4_S4_EEv18rocblas_operation_S5_T0_S6_S6_T1_T2_lS6_S6_lT3_lS6_S6_lS7_T4_lS6_S6_l,@function
_ZN9rocsolver6v33100L16mfma_gemm_kernelI19rocblas_complex_numIfEiS3_PS3_S4_S4_EEv18rocblas_operation_S5_T0_S6_S6_T1_T2_lS6_S6_lT3_lS6_S6_lS7_T4_lS6_S6_l: ; @_ZN9rocsolver6v33100L16mfma_gemm_kernelI19rocblas_complex_numIfEiS3_PS3_S4_S4_EEv18rocblas_operation_S5_T0_S6_S6_T1_T2_lS6_S6_lT3_lS6_S6_lS7_T4_lS6_S6_l
; %bb.0:
	s_load_dword s0, s[6:7], 0x94
	s_load_dwordx4 s[24:27], s[6:7], 0x0
	v_and_b32_e32 v17, 0x3ff, v0
	v_bfe_u32 v1, v0, 10, 10
	v_lshrrev_b32_e32 v2, 6, v17
	s_waitcnt lgkmcnt(0)
	s_lshr_b32 s1, s0, 16
	s_bfe_u32 s0, s0, 0xa0006
	s_mul_i32 s8, s8, s0
	s_mul_i32 s9, s9, s1
	v_add_lshl_u32 v18, s8, v2, 4
	v_add_u32_e32 v2, s9, v1
	v_lshlrev_b32_e32 v19, 4, v2
	v_cmp_gt_i32_e32 vcc, s26, v18
	v_cmp_gt_i32_e64 s[0:1], s27, v19
	s_and_b64 s[0:1], vcc, s[0:1]
	s_and_saveexec_b64 s[2:3], s[0:1]
	s_cbranch_execz .LBB1_37
; %bb.1:
	s_load_dwordx2 s[0:1], s[4:5], 0x4
	v_bfe_u32 v0, v0, 20, 10
	s_load_dwordx4 s[20:23], s[6:7], 0x10
	s_load_dwordx2 s[28:29], s[6:7], 0x60
	s_ashr_i32 s11, s10, 31
	v_bfe_u32 v21, v17, 2, 4
	s_waitcnt lgkmcnt(0)
	s_lshr_b32 s0, s0, 16
	s_mul_i32 s0, s0, s1
	v_mul_lo_u32 v2, s0, v17
	s_ashr_i32 s0, s26, 31
	s_lshr_b32 s0, s0, 28
	s_add_i32 s0, s26, s0
	s_and_b32 s0, s0, -16
	v_mul_u32_u24_e32 v1, s1, v1
	s_sub_i32 s0, s26, s0
	v_add3_u32 v0, v2, v1, v0
	v_mov_b32_e32 v1, s0
	s_ashr_i32 s0, s27, 31
	s_lshr_b32 s0, s0, 28
	s_add_i32 s0, s27, s0
	v_mul_lo_u32 v24, v0, 20
	v_add_u32_e32 v0, 16, v18
	s_and_b32 s0, s0, -16
	v_cmp_lt_i32_e32 vcc, s26, v0
	v_add_u32_e32 v0, 16, v19
	s_sub_i32 s0, s27, s0
	v_cndmask_b32_e32 v16, 16, v1, vcc
	v_mov_b32_e32 v1, s0
	v_cmp_lt_i32_e32 vcc, s27, v0
	v_cndmask_b32_e32 v20, 16, v1, vcc
	v_and_b32_e32 v22, 3, v17
	s_cmp_lt_i32 s20, 1
	v_mov_b32_e32 v1, 0
	s_mov_b32 s23, 0
	v_cmp_lt_i32_e64 s[0:1], v21, v20
	v_mbcnt_lo_u32_b32 v23, -1, 0
	v_mov_b32_e32 v2, 0
	v_mov_b32_e32 v13, 0
	;; [unrolled: 1-line block ×7, first 2 shown]
	ds_write2_b32 v24, v1, v1 offset0:2 offset1:3
	ds_write2_b32 v24, v1, v1 offset1:1
	ds_write_b32 v24, v1 offset:16
	s_cbranch_scc1 .LBB1_29
; %bb.2:
	s_load_dwordx8 s[12:19], s[6:7], 0x38
	s_load_dwordx4 s[36:39], s[6:7], 0x20
	s_load_dwordx2 s[26:27], s[6:7], 0x30
	s_load_dwordx2 s[2:3], s[6:7], 0x58
	v_and_b32_e32 v2, 63, v17
	v_lshrrev_b32_e32 v29, 4, v2
	s_waitcnt lgkmcnt(0)
	s_mul_i32 s4, s10, s13
	s_mul_hi_u32 s5, s10, s12
	s_add_i32 s4, s5, s4
	s_mul_i32 s5, s11, s12
	s_add_i32 s5, s4, s5
	s_mul_i32 s4, s10, s12
	s_lshl_b64 s[4:5], s[4:5], 3
	s_add_u32 s8, s36, s4
	s_addc_u32 s9, s37, s5
	s_lshl_b64 s[4:5], s[38:39], 3
	s_add_u32 s4, s8, s4
	s_mul_i32 s3, s10, s3
	s_mul_hi_u32 s8, s10, s2
	s_addc_u32 s5, s9, s5
	s_add_i32 s3, s8, s3
	s_mul_i32 s8, s11, s2
	s_add_i32 s3, s3, s8
	s_mul_i32 s2, s10, s2
	s_lshl_b64 s[2:3], s[2:3], 3
	s_add_u32 s8, s14, s2
	s_addc_u32 s9, s15, s3
	s_lshl_b64 s[2:3], s[16:17], 3
	s_add_u32 s2, s8, s2
	s_addc_u32 s3, s9, s3
	s_cmpk_lg_i32 s24, 0x6f
	s_cselect_b64 s[12:13], -1, 0
	s_cmpk_eq_i32 s24, 0x6f
	s_cselect_b32 s8, s26, s27
	v_mul_lo_u32 v0, v18, s8
	v_ashrrev_i32_e32 v1, 31, v0
	s_cmpk_lg_i32 s25, 0x6f
	v_lshlrev_b64 v[0:1], 3, v[0:1]
	s_cselect_b64 s[14:15], -1, 0
	s_cmpk_eq_i32 s25, 0x6f
	v_add_co_u32_e32 v25, vcc, s4, v0
	s_cselect_b32 s4, s19, s18
	v_mov_b32_e32 v3, s5
	v_mul_lo_u32 v0, v19, s4
	v_addc_co_u32_e32 v26, vcc, v3, v1, vcc
	v_ashrrev_i32_e32 v1, 31, v0
	v_lshlrev_b64 v[0:1], 3, v[0:1]
	v_mov_b32_e32 v3, s3
	v_add_co_u32_e32 v27, vcc, s2, v0
	v_addc_co_u32_e32 v28, vcc, v3, v1, vcc
	v_and_b32_e32 v1, 15, v17
	v_mul_lo_u32 v0, v1, s26
	s_cmpk_eq_i32 s24, 0x71
	v_mad_u64_u32 v[4:5], s[30:31], s27, v29, v[0:1]
	v_mul_lo_u32 v0, s26, v22
	s_cselect_b64 s[16:17], -1, 0
	s_cmpk_eq_i32 s25, 0x71
	v_mad_u64_u32 v[6:7], s[34:35], v21, s27, v[0:1]
	v_mul_lo_u32 v0, s18, v22
	v_lshl_or_b32 v3, v1, 2, v29
	v_cmp_lt_i32_e64 s[4:5], v1, v16
	v_cmp_lt_i32_e64 s[8:9], v1, v20
	v_mul_lo_u32 v2, v1, s18
	s_cselect_b64 s[24:25], -1, 0
	s_lshl_b32 s30, s27, 2
	s_lshl_b32 s31, s26, 2
	v_mad_u64_u32 v[8:9], s[26:27], v21, s19, v[0:1]
	v_mbcnt_hi_u32_b32 v1, -1, v23
	v_mov_b32_e32 v0, 0
	v_and_or_b32 v1, v1, 64, v3
	v_cmp_lt_i32_e64 s[2:3], v21, v16
	s_lshl_b32 s33, s18, 2
	v_mad_u64_u32 v[10:11], s[26:27], s19, v29, v[2:3]
	s_lshl_b32 s34, s19, 2
	v_lshlrev_b32_e32 v30, 2, v1
	v_mov_b32_e32 v3, v0
	v_mov_b32_e32 v2, v0
	;; [unrolled: 1-line block ×3, first 2 shown]
	s_branch .LBB1_6
.LBB1_3:                                ;   in Loop: Header=BB1_6 Depth=1
	s_or_b64 exec, exec, s[26:27]
.LBB1_4:                                ;   in Loop: Header=BB1_6 Depth=1
	s_or_b64 exec, exec, s[18:19]
	s_waitcnt vmcnt(0)
	ds_bpermute_b32 v14, v30, v14
	ds_bpermute_b32 v15, v30, v15
.LBB1_5:                                ;   in Loop: Header=BB1_6 Depth=1
	s_waitcnt vmcnt(0) lgkmcnt(0)
	v_cndmask_b32_e64 v7, v13, -v13, s[16:17]
	v_cndmask_b32_e64 v5, v15, -v15, s[24:25]
	v_mfma_f32_16x16x4f32 v[32:35], v12, v14, 0
	s_add_i32 s23, s23, 4
	v_add_u32_e32 v4, s30, v4
	v_add_u32_e32 v6, s31, v6
	;; [unrolled: 1-line block ×3, first 2 shown]
	s_cmp_ge_i32 s23, s20
	v_add_u32_e32 v10, s34, v10
	v_mfma_f32_16x16x4f32 v[40:43], v7, v5, 0
	v_mfma_f32_16x16x4f32 v[36:39], v12, v5, 0
	ds_read2_b32 v[12:13], v24 offset1:1
	ds_read2_b32 v[44:45], v24 offset0:3 offset1:4
	ds_read2_b32 v[46:47], v24 offset0:2 offset1:3
	;; [unrolled: 1-line block ×3, first 2 shown]
	s_nop 5
	v_sub_f32_e32 v35, v35, v43
	v_sub_f32_e32 v34, v34, v42
	;; [unrolled: 1-line block ×4, first 2 shown]
	s_waitcnt lgkmcnt(1)
	v_mov_b32_e32 v13, v46
	v_pk_add_f32 v[12:13], v[12:13], v[32:33]
	v_pk_add_f32 v[0:1], v[0:1], v[34:35]
	v_mfma_f32_16x16x4f32 v[32:35], v7, v14, 0
	s_waitcnt lgkmcnt(0)
	v_mov_b32_e32 v49, v44
	s_nop 7
	s_nop 0
	v_pk_add_f32 v[14:15], v[38:39], v[34:35]
	v_pk_add_f32 v[32:33], v[36:37], v[32:33]
	;; [unrolled: 1-line block ×4, first 2 shown]
	ds_write2_b32 v24, v12, v14 offset1:1
	v_mov_b32_e32 v12, v13
	v_mov_b32_e32 v5, v15
	ds_write2_b32 v24, v13, v15 offset0:2 offset1:3
	ds_write_b32 v24, v0 offset:16
	s_cbranch_scc1 .LBB1_28
.LBB1_6:                                ; =>This Inner Loop Header: Depth=1
	s_and_b64 vcc, exec, s[12:13]
	s_cbranch_vccz .LBB1_18
; %bb.7:                                ;   in Loop: Header=BB1_6 Depth=1
	v_mov_b32_e32 v12, 0
	v_mov_b32_e32 v13, 0
	s_and_saveexec_b64 s[18:19], s[2:3]
	s_cbranch_execz .LBB1_11
; %bb.8:                                ;   in Loop: Header=BB1_6 Depth=1
	v_add_u32_e32 v5, s23, v22
	v_cmp_gt_i32_e32 vcc, s20, v5
	v_mov_b32_e32 v13, 0
	v_mov_b32_e32 v12, 0
	s_and_saveexec_b64 s[26:27], vcc
	s_cbranch_execz .LBB1_10
; %bb.9:                                ;   in Loop: Header=BB1_6 Depth=1
	v_ashrrev_i32_e32 v7, 31, v6
	v_lshlrev_b64 v[12:13], 3, v[6:7]
	v_add_co_u32_e32 v12, vcc, v25, v12
	v_addc_co_u32_e32 v13, vcc, v26, v13, vcc
	global_load_dwordx2 v[12:13], v[12:13], off
.LBB1_10:                               ;   in Loop: Header=BB1_6 Depth=1
	s_or_b64 exec, exec, s[26:27]
.LBB1_11:                               ;   in Loop: Header=BB1_6 Depth=1
	s_or_b64 exec, exec, s[18:19]
	s_waitcnt vmcnt(0)
	ds_bpermute_b32 v12, v30, v12
	ds_bpermute_b32 v13, v30, v13
.LBB1_12:                               ;   in Loop: Header=BB1_6 Depth=1
	s_and_b64 vcc, exec, s[14:15]
	s_cbranch_vccz .LBB1_24
.LBB1_13:                               ;   in Loop: Header=BB1_6 Depth=1
	v_mov_b32_e32 v15, 0
	v_mov_b32_e32 v14, 0
	s_and_saveexec_b64 s[18:19], s[8:9]
	s_cbranch_execz .LBB1_17
; %bb.14:                               ;   in Loop: Header=BB1_6 Depth=1
	v_add_u32_e32 v5, s23, v29
	v_cmp_gt_i32_e32 vcc, s20, v5
	v_mov_b32_e32 v15, 0
	v_mov_b32_e32 v14, 0
	s_and_saveexec_b64 s[26:27], vcc
	s_cbranch_execz .LBB1_16
; %bb.15:                               ;   in Loop: Header=BB1_6 Depth=1
	v_ashrrev_i32_e32 v11, 31, v10
	v_lshlrev_b64 v[14:15], 3, v[10:11]
	v_add_co_u32_e32 v14, vcc, v27, v14
	v_addc_co_u32_e32 v15, vcc, v28, v15, vcc
	global_load_dwordx2 v[14:15], v[14:15], off
.LBB1_16:                               ;   in Loop: Header=BB1_6 Depth=1
	s_or_b64 exec, exec, s[26:27]
.LBB1_17:                               ;   in Loop: Header=BB1_6 Depth=1
	s_or_b64 exec, exec, s[18:19]
	s_cbranch_execnz .LBB1_5
	s_branch .LBB1_25
.LBB1_18:                               ;   in Loop: Header=BB1_6 Depth=1
                                        ; implicit-def: $vgpr13
	s_cbranch_execz .LBB1_12
; %bb.19:                               ;   in Loop: Header=BB1_6 Depth=1
	s_waitcnt lgkmcnt(0)
	v_mov_b32_e32 v13, 0
	v_mov_b32_e32 v12, 0
	s_and_saveexec_b64 s[18:19], s[4:5]
	s_cbranch_execz .LBB1_23
; %bb.20:                               ;   in Loop: Header=BB1_6 Depth=1
	v_add_u32_e32 v5, s23, v29
	v_cmp_gt_i32_e32 vcc, s20, v5
	v_mov_b32_e32 v13, 0
	v_mov_b32_e32 v12, 0
	s_and_saveexec_b64 s[26:27], vcc
	s_cbranch_execz .LBB1_22
; %bb.21:                               ;   in Loop: Header=BB1_6 Depth=1
	v_ashrrev_i32_e32 v5, 31, v4
	v_lshlrev_b64 v[12:13], 3, v[4:5]
	v_add_co_u32_e32 v12, vcc, v25, v12
	v_addc_co_u32_e32 v13, vcc, v26, v13, vcc
	global_load_dwordx2 v[12:13], v[12:13], off
.LBB1_22:                               ;   in Loop: Header=BB1_6 Depth=1
	s_or_b64 exec, exec, s[26:27]
.LBB1_23:                               ;   in Loop: Header=BB1_6 Depth=1
	s_or_b64 exec, exec, s[18:19]
	s_and_b64 vcc, exec, s[14:15]
	s_cbranch_vccnz .LBB1_13
.LBB1_24:                               ;   in Loop: Header=BB1_6 Depth=1
                                        ; implicit-def: $vgpr15
.LBB1_25:                               ;   in Loop: Header=BB1_6 Depth=1
	s_waitcnt vmcnt(0)
	v_mov_b32_e32 v14, 0
	v_mov_b32_e32 v15, 0
	s_and_saveexec_b64 s[18:19], s[0:1]
	s_cbranch_execz .LBB1_4
; %bb.26:                               ;   in Loop: Header=BB1_6 Depth=1
	v_add_u32_e32 v5, s23, v22
	v_cmp_gt_i32_e32 vcc, s20, v5
	v_mov_b32_e32 v15, 0
	v_mov_b32_e32 v14, 0
	s_and_saveexec_b64 s[26:27], vcc
	s_cbranch_execz .LBB1_3
; %bb.27:                               ;   in Loop: Header=BB1_6 Depth=1
	v_ashrrev_i32_e32 v9, 31, v8
	v_lshlrev_b64 v[14:15], 3, v[8:9]
	v_add_co_u32_e32 v14, vcc, v27, v14
	v_addc_co_u32_e32 v15, vcc, v28, v15, vcc
	global_load_dwordx2 v[14:15], v[14:15], off
	s_branch .LBB1_3
.LBB1_28:
	ds_read_b32 v4, v24
.LBB1_29:
	s_load_dwordx8 s[0:7], s[6:7], 0x68
	v_mbcnt_hi_u32_b32 v9, -1, v23
	v_and_b32_e32 v9, 64, v9
	s_waitcnt lgkmcnt(0)
	s_mul_i32 s7, s10, s7
	s_mul_hi_u32 s8, s10, s6
	s_mul_i32 s9, s11, s6
	s_add_i32 s7, s8, s7
	s_mul_i32 s6, s10, s6
	s_add_i32 s7, s7, s9
	s_lshl_b64 s[6:7], s[6:7], 3
	s_add_u32 s6, s0, s6
	s_addc_u32 s7, s1, s7
	s_lshl_b64 s[0:1], s[2:3], 3
	s_add_u32 s2, s6, s0
	v_mul_lo_u32 v6, v18, s4
	s_addc_u32 s3, s7, s1
	v_mad_u64_u32 v[6:7], s[0:1], v19, s5, v[6:7]
	v_ashrrev_i32_e32 v7, 31, v6
	v_lshlrev_b64 v[6:7], 3, v[6:7]
	v_mov_b32_e32 v8, s3
	v_add_co_u32_e32 v5, vcc, s2, v6
	v_addc_co_u32_e32 v6, vcc, v8, v7, vcc
	v_lshlrev_b32_e32 v8, 4, v17
	v_and_b32_e32 v8, 48, v8
	v_or3_b32 v8, v8, v9, v21
	v_lshlrev_b32_e32 v8, 2, v8
	ds_bpermute_b32 v9, v8, v4
	ds_bpermute_b32 v10, v8, v14
	v_lshlrev_b32_e32 v7, 2, v22
	v_cmp_lt_i32_e32 vcc, v21, v20
	v_cmp_lt_i32_e64 s[0:1], v7, v16
	v_mul_lo_u32 v4, v21, s5
	s_and_b64 s[0:1], vcc, s[0:1]
	s_and_saveexec_b64 s[2:3], s[0:1]
	s_cbranch_execz .LBB1_31
; %bb.30:
	v_mad_u64_u32 v[18:19], s[0:1], v7, s4, v[4:5]
	v_ashrrev_i32_e32 v19, 31, v18
	v_lshlrev_b64 v[18:19], 3, v[18:19]
	v_add_co_u32_e64 v18, s[0:1], v5, v18
	v_addc_co_u32_e64 v19, s[0:1], v6, v19, s[0:1]
	global_load_dwordx2 v[20:21], v[18:19], off
	s_waitcnt lgkmcnt(0)
	v_mul_f32_e32 v11, s22, v10
	v_mul_f32_e32 v12, s22, v9
	v_fma_f32 v9, s21, v9, -v11
	v_fmac_f32_e32 v12, s21, v10
	s_waitcnt vmcnt(0)
	v_mul_f32_e32 v10, s29, v21
	v_mul_f32_e32 v11, s28, v21
	v_fma_f32 v10, s28, v20, -v10
	v_fmac_f32_e32 v11, s29, v20
	v_add_f32_e32 v10, v9, v10
	v_add_f32_e32 v11, v12, v11
	global_store_dwordx2 v[18:19], v[10:11], off
.LBB1_31:
	s_or_b64 exec, exec, s[2:3]
	s_waitcnt lgkmcnt(1)
	ds_bpermute_b32 v9, v8, v13
	s_waitcnt lgkmcnt(1)
	ds_bpermute_b32 v10, v8, v15
	v_or_b32_e32 v11, 1, v7
	v_cmp_lt_i32_e64 s[0:1], v11, v16
	s_and_b64 s[0:1], vcc, s[0:1]
	s_and_saveexec_b64 s[2:3], s[0:1]
	s_cbranch_execz .LBB1_33
; %bb.32:
	v_mad_u64_u32 v[12:13], s[0:1], v11, s4, v[4:5]
	v_ashrrev_i32_e32 v13, 31, v12
	v_lshlrev_b64 v[12:13], 3, v[12:13]
	v_add_co_u32_e64 v12, s[0:1], v5, v12
	v_addc_co_u32_e64 v13, s[0:1], v6, v13, s[0:1]
	global_load_dwordx2 v[14:15], v[12:13], off
	s_waitcnt lgkmcnt(0)
	v_mul_f32_e32 v11, s22, v10
	v_mul_f32_e32 v17, s21, v10
	v_fma_f32 v10, s21, v9, -v11
	v_fmac_f32_e32 v17, s22, v9
	s_waitcnt vmcnt(0)
	v_mul_f32_e32 v9, s29, v15
	v_mul_f32_e32 v11, s28, v15
	v_fma_f32 v9, s28, v14, -v9
	v_fmac_f32_e32 v11, s29, v14
	v_add_f32_e32 v10, v10, v9
	v_add_f32_e32 v11, v17, v11
	global_store_dwordx2 v[12:13], v[10:11], off
.LBB1_33:
	s_or_b64 exec, exec, s[2:3]
	ds_bpermute_b32 v0, v8, v0
	ds_bpermute_b32 v2, v8, v2
	s_waitcnt lgkmcnt(3)
	v_or_b32_e32 v9, 2, v7
	v_cmp_lt_i32_e64 s[0:1], v9, v16
	s_and_b64 s[0:1], vcc, s[0:1]
	s_and_saveexec_b64 s[2:3], s[0:1]
	s_cbranch_execz .LBB1_35
; %bb.34:
	s_waitcnt lgkmcnt(2)
	v_mad_u64_u32 v[10:11], s[0:1], v9, s4, v[4:5]
	v_ashrrev_i32_e32 v11, 31, v10
	v_lshlrev_b64 v[10:11], 3, v[10:11]
	v_add_co_u32_e64 v10, s[0:1], v5, v10
	v_addc_co_u32_e64 v11, s[0:1], v6, v11, s[0:1]
	global_load_dwordx2 v[12:13], v[10:11], off
	s_waitcnt lgkmcnt(0)
	v_mul_f32_e32 v9, s22, v2
	v_mul_f32_e32 v2, s21, v2
	v_fma_f32 v9, s21, v0, -v9
	v_fmac_f32_e32 v2, s22, v0
	s_waitcnt vmcnt(0)
	v_mul_f32_e32 v0, s29, v13
	v_mul_f32_e32 v13, s28, v13
	v_fma_f32 v0, s28, v12, -v0
	v_fmac_f32_e32 v13, s29, v12
	v_add_f32_e32 v12, v9, v0
	v_add_f32_e32 v13, v2, v13
	global_store_dwordx2 v[10:11], v[12:13], off
.LBB1_35:
	s_or_b64 exec, exec, s[2:3]
	s_waitcnt lgkmcnt(1)
	ds_bpermute_b32 v0, v8, v1
	ds_bpermute_b32 v1, v8, v3
	s_waitcnt lgkmcnt(2)
	v_or_b32_e32 v2, 3, v7
	v_cmp_lt_i32_e64 s[0:1], v2, v16
	s_and_b64 s[0:1], vcc, s[0:1]
	s_and_b64 exec, exec, s[0:1]
	s_cbranch_execz .LBB1_37
; %bb.36:
	v_mad_u64_u32 v[2:3], s[0:1], v2, s4, v[4:5]
	v_ashrrev_i32_e32 v3, 31, v2
	v_lshlrev_b64 v[2:3], 3, v[2:3]
	v_add_co_u32_e32 v2, vcc, v5, v2
	v_addc_co_u32_e32 v3, vcc, v6, v3, vcc
	global_load_dwordx2 v[4:5], v[2:3], off
	s_waitcnt lgkmcnt(0)
	v_mul_f32_e32 v6, s22, v1
	v_mul_f32_e32 v1, s21, v1
	v_fma_f32 v6, s21, v0, -v6
	v_fmac_f32_e32 v1, s22, v0
	s_waitcnt vmcnt(0)
	v_mul_f32_e32 v0, s29, v5
	v_mul_f32_e32 v5, s28, v5
	v_fma_f32 v0, s28, v4, -v0
	v_fmac_f32_e32 v5, s29, v4
	v_add_f32_e32 v0, v6, v0
	v_add_f32_e32 v1, v1, v5
	global_store_dwordx2 v[2:3], v[0:1], off
.LBB1_37:
	s_endpgm
	.section	.rodata,"a",@progbits
	.p2align	6, 0x0
	.amdhsa_kernel _ZN9rocsolver6v33100L16mfma_gemm_kernelI19rocblas_complex_numIfEiS3_PS3_S4_S4_EEv18rocblas_operation_S5_T0_S6_S6_T1_T2_lS6_S6_lT3_lS6_S6_lS7_T4_lS6_S6_l
		.amdhsa_group_segment_fixed_size 20480
		.amdhsa_private_segment_fixed_size 0
		.amdhsa_kernarg_size 392
		.amdhsa_user_sgpr_count 8
		.amdhsa_user_sgpr_private_segment_buffer 1
		.amdhsa_user_sgpr_dispatch_ptr 1
		.amdhsa_user_sgpr_queue_ptr 0
		.amdhsa_user_sgpr_kernarg_segment_ptr 1
		.amdhsa_user_sgpr_dispatch_id 0
		.amdhsa_user_sgpr_flat_scratch_init 0
		.amdhsa_user_sgpr_kernarg_preload_length 0
		.amdhsa_user_sgpr_kernarg_preload_offset 0
		.amdhsa_user_sgpr_private_segment_size 0
		.amdhsa_uses_dynamic_stack 0
		.amdhsa_system_sgpr_private_segment_wavefront_offset 0
		.amdhsa_system_sgpr_workgroup_id_x 1
		.amdhsa_system_sgpr_workgroup_id_y 1
		.amdhsa_system_sgpr_workgroup_id_z 1
		.amdhsa_system_sgpr_workgroup_info 0
		.amdhsa_system_vgpr_workitem_id 2
		.amdhsa_next_free_vgpr 50
		.amdhsa_next_free_sgpr 40
		.amdhsa_accum_offset 52
		.amdhsa_reserve_vcc 1
		.amdhsa_reserve_flat_scratch 0
		.amdhsa_float_round_mode_32 0
		.amdhsa_float_round_mode_16_64 0
		.amdhsa_float_denorm_mode_32 3
		.amdhsa_float_denorm_mode_16_64 3
		.amdhsa_dx10_clamp 1
		.amdhsa_ieee_mode 1
		.amdhsa_fp16_overflow 0
		.amdhsa_tg_split 0
		.amdhsa_exception_fp_ieee_invalid_op 0
		.amdhsa_exception_fp_denorm_src 0
		.amdhsa_exception_fp_ieee_div_zero 0
		.amdhsa_exception_fp_ieee_overflow 0
		.amdhsa_exception_fp_ieee_underflow 0
		.amdhsa_exception_fp_ieee_inexact 0
		.amdhsa_exception_int_div_zero 0
	.end_amdhsa_kernel
	.section	.text._ZN9rocsolver6v33100L16mfma_gemm_kernelI19rocblas_complex_numIfEiS3_PS3_S4_S4_EEv18rocblas_operation_S5_T0_S6_S6_T1_T2_lS6_S6_lT3_lS6_S6_lS7_T4_lS6_S6_l,"axG",@progbits,_ZN9rocsolver6v33100L16mfma_gemm_kernelI19rocblas_complex_numIfEiS3_PS3_S4_S4_EEv18rocblas_operation_S5_T0_S6_S6_T1_T2_lS6_S6_lT3_lS6_S6_lS7_T4_lS6_S6_l,comdat
.Lfunc_end1:
	.size	_ZN9rocsolver6v33100L16mfma_gemm_kernelI19rocblas_complex_numIfEiS3_PS3_S4_S4_EEv18rocblas_operation_S5_T0_S6_S6_T1_T2_lS6_S6_lT3_lS6_S6_lS7_T4_lS6_S6_l, .Lfunc_end1-_ZN9rocsolver6v33100L16mfma_gemm_kernelI19rocblas_complex_numIfEiS3_PS3_S4_S4_EEv18rocblas_operation_S5_T0_S6_S6_T1_T2_lS6_S6_lT3_lS6_S6_lS7_T4_lS6_S6_l
                                        ; -- End function
	.section	.AMDGPU.csdata,"",@progbits
; Kernel info:
; codeLenInByte = 2156
; NumSgprs: 44
; NumVgprs: 50
; NumAgprs: 0
; TotalNumVgprs: 50
; ScratchSize: 0
; MemoryBound: 0
; FloatMode: 240
; IeeeMode: 1
; LDSByteSize: 20480 bytes/workgroup (compile time only)
; SGPRBlocks: 5
; VGPRBlocks: 6
; NumSGPRsForWavesPerEU: 44
; NumVGPRsForWavesPerEU: 50
; AccumOffset: 52
; Occupancy: 8
; WaveLimiterHint : 0
; COMPUTE_PGM_RSRC2:SCRATCH_EN: 0
; COMPUTE_PGM_RSRC2:USER_SGPR: 8
; COMPUTE_PGM_RSRC2:TRAP_HANDLER: 0
; COMPUTE_PGM_RSRC2:TGID_X_EN: 1
; COMPUTE_PGM_RSRC2:TGID_Y_EN: 1
; COMPUTE_PGM_RSRC2:TGID_Z_EN: 1
; COMPUTE_PGM_RSRC2:TIDIG_COMP_CNT: 2
; COMPUTE_PGM_RSRC3_GFX90A:ACCUM_OFFSET: 12
; COMPUTE_PGM_RSRC3_GFX90A:TG_SPLIT: 0
	.section	.text._ZN9rocsolver6v33100L11gemm_kernelI19rocblas_complex_numIfEiPKS3_PS3_S6_S6_EEvT0_S7_S7_T1_bT2_lS7_S7_lbT3_lS7_S7_lS8_T4_lS7_S7_l,"axG",@progbits,_ZN9rocsolver6v33100L11gemm_kernelI19rocblas_complex_numIfEiPKS3_PS3_S6_S6_EEvT0_S7_S7_T1_bT2_lS7_S7_lbT3_lS7_S7_lS8_T4_lS7_S7_l,comdat
	.globl	_ZN9rocsolver6v33100L11gemm_kernelI19rocblas_complex_numIfEiPKS3_PS3_S6_S6_EEvT0_S7_S7_T1_bT2_lS7_S7_lbT3_lS7_S7_lS8_T4_lS7_S7_l ; -- Begin function _ZN9rocsolver6v33100L11gemm_kernelI19rocblas_complex_numIfEiPKS3_PS3_S6_S6_EEvT0_S7_S7_T1_bT2_lS7_S7_lbT3_lS7_S7_lS8_T4_lS7_S7_l
	.p2align	8
	.type	_ZN9rocsolver6v33100L11gemm_kernelI19rocblas_complex_numIfEiPKS3_PS3_S6_S6_EEvT0_S7_S7_T1_bT2_lS7_S7_lbT3_lS7_S7_lS8_T4_lS7_S7_l,@function
_ZN9rocsolver6v33100L11gemm_kernelI19rocblas_complex_numIfEiPKS3_PS3_S6_S6_EEvT0_S7_S7_T1_bT2_lS7_S7_lbT3_lS7_S7_lS8_T4_lS7_S7_l: ; @_ZN9rocsolver6v33100L11gemm_kernelI19rocblas_complex_numIfEiPKS3_PS3_S6_S6_EEvT0_S7_S7_T1_bT2_lS7_S7_lbT3_lS7_S7_lS8_T4_lS7_S7_l
; %bb.0:
	s_load_dword s9, s[4:5], 0x9c
	s_load_dwordx4 s[0:3], s[4:5], 0x0
	v_and_b32_e32 v1, 0x3ff, v0
	v_bfe_u32 v0, v0, 10, 10
	s_waitcnt lgkmcnt(0)
	s_lshr_b32 s3, s9, 16
	s_and_b32 s9, s9, 0xffff
	s_mul_i32 s6, s6, s9
	s_mul_i32 s7, s7, s3
	v_add_u32_e32 v8, s6, v1
	v_add_u32_e32 v9, s7, v0
	v_cmp_gt_i32_e32 vcc, s0, v8
	v_cmp_gt_i32_e64 s[0:1], s1, v9
	s_and_b64 s[0:1], vcc, s[0:1]
	s_and_saveexec_b64 s[6:7], s[0:1]
	s_cbranch_execz .LBB2_9
; %bb.1:
	s_load_dwordx2 s[10:11], s[4:5], 0x10
	s_load_dwordx8 s[12:19], s[4:5], 0x60
	s_ashr_i32 s3, s8, 31
	s_cmp_lt_i32 s2, 1
	v_mov_b32_e32 v10, 0
	v_mov_b32_e32 v11, 0
	s_waitcnt lgkmcnt(0)
	s_load_dwordx2 s[6:7], s[10:11], 0x0
	s_load_dwordx2 s[0:1], s[14:15], 0x0
	s_cbranch_scc1 .LBB2_8
; %bb.2:
	s_load_dword s9, s[4:5], 0x18
	s_load_dwordx8 s[20:27], s[4:5], 0x20
	s_load_dword s28, s[4:5], 0x40
	s_load_dwordx4 s[36:39], s[4:5], 0x48
	s_load_dwordx2 s[10:11], s[4:5], 0x58
	s_waitcnt lgkmcnt(0)
	s_bitcmp1_b32 s9, 0
	s_cselect_b64 s[14:15], -1, 0
	s_xor_b64 s[14:15], s[14:15], -1
	s_bitcmp1_b32 s28, 0
	s_mul_i32 s9, s8, s27
	s_mul_hi_u32 s27, s8, s26
	s_cselect_b64 s[28:29], -1, 0
	s_add_i32 s9, s27, s9
	s_mul_i32 s27, s3, s26
	s_add_i32 s27, s9, s27
	s_mul_i32 s26, s8, s26
	s_lshl_b64 s[26:27], s[26:27], 3
	s_add_u32 s9, s20, s26
	s_addc_u32 s26, s21, s27
	s_lshl_b64 s[20:21], s[22:23], 3
	s_add_u32 s9, s9, s20
	s_mul_i32 s13, s8, s13
	s_mul_hi_u32 s20, s8, s12
	s_addc_u32 s21, s26, s21
	s_add_i32 s13, s20, s13
	s_mul_i32 s20, s3, s12
	s_add_i32 s13, s13, s20
	s_mul_i32 s12, s8, s12
	s_lshl_b64 s[12:13], s[12:13], 3
	s_add_u32 s20, s36, s12
	s_addc_u32 s22, s37, s13
	s_lshl_b64 s[12:13], s[38:39], 3
	s_add_u32 s20, s20, s12
	s_addc_u32 s12, s22, s13
	v_mul_lo_u32 v0, v8, s24
	v_mul_lo_u32 v2, v9, s11
	v_mov_b32_e32 v10, 0
	v_mov_b32_e32 v12, s21
	v_mov_b32_e32 v13, s12
	v_mov_b32_e32 v11, 0
	s_branch .LBB2_4
.LBB2_3:                                ;   in Loop: Header=BB2_4 Depth=1
	v_ashrrev_i32_e32 v3, 31, v2
	v_lshlrev_b64 v[6:7], 3, v[2:3]
	v_add_co_u32_e32 v6, vcc, s20, v6
	v_addc_co_u32_e32 v7, vcc, v13, v7, vcc
	global_load_dwordx2 v[6:7], v[6:7], off
	s_add_i32 s2, s2, -1
	v_add_u32_e32 v2, s10, v2
	s_cmp_eq_u32 s2, 0
	v_add_u32_e32 v0, s25, v0
	s_waitcnt vmcnt(0)
	v_cndmask_b32_e64 v1, v7, -v7, s[28:29]
	v_mul_f32_e32 v3, v6, v5
	v_mul_f32_e32 v5, v1, v5
	v_fmac_f32_e32 v3, v1, v4
	v_fma_f32 v1, v6, v4, -v5
	v_add_f32_e32 v10, v10, v3
	v_add_f32_e32 v11, v11, v1
	s_cbranch_scc1 .LBB2_8
.LBB2_4:                                ; =>This Inner Loop Header: Depth=1
	v_ashrrev_i32_e32 v1, 31, v0
	v_lshlrev_b64 v[4:5], 3, v[0:1]
	v_add_co_u32_e32 v6, vcc, s9, v4
	v_addc_co_u32_e32 v7, vcc, v12, v5, vcc
	s_and_b64 vcc, exec, s[14:15]
	s_cbranch_vccz .LBB2_6
; %bb.5:                                ;   in Loop: Header=BB2_4 Depth=1
	global_load_dwordx2 v[4:5], v[6:7], off
	s_cbranch_execnz .LBB2_3
	s_branch .LBB2_7
.LBB2_6:                                ;   in Loop: Header=BB2_4 Depth=1
                                        ; implicit-def: $vgpr5
.LBB2_7:                                ;   in Loop: Header=BB2_4 Depth=1
	global_load_dwordx2 v[4:5], v[6:7], off
	s_waitcnt vmcnt(0)
	v_xor_b32_e32 v5, 0x80000000, v5
	s_branch .LBB2_3
.LBB2_8:
	s_load_dwordx4 s[12:15], s[4:5], 0x80
	s_waitcnt lgkmcnt(0)
	v_mul_f32_e32 v4, s7, v10
	v_mul_f32_e32 v5, s6, v10
	v_fma_f32 v4, s6, v11, -v4
	v_fmac_f32_e32 v5, s7, v11
	s_mul_i32 s4, s8, s15
	s_mul_hi_u32 s5, s8, s14
	s_mul_i32 s3, s3, s14
	s_add_i32 s4, s5, s4
	s_mul_i32 s2, s8, s14
	s_add_i32 s3, s4, s3
	s_lshl_b64 s[2:3], s[2:3], 3
	s_add_u32 s4, s16, s2
	s_addc_u32 s5, s17, s3
	s_lshl_b64 s[2:3], s[18:19], 3
	s_add_u32 s4, s4, s2
	v_mul_lo_u32 v0, v8, s12
	s_addc_u32 s5, s5, s3
	v_mad_u64_u32 v[0:1], s[2:3], v9, s13, v[0:1]
	v_ashrrev_i32_e32 v1, 31, v0
	v_lshlrev_b64 v[0:1], 3, v[0:1]
	v_mov_b32_e32 v2, s5
	v_add_co_u32_e32 v0, vcc, s4, v0
	v_addc_co_u32_e32 v1, vcc, v2, v1, vcc
	global_load_dwordx2 v[2:3], v[0:1], off
	s_waitcnt vmcnt(0)
	v_mul_f32_e32 v6, s1, v3
	v_mul_f32_e32 v3, s0, v3
	v_fma_f32 v6, s0, v2, -v6
	v_fmac_f32_e32 v3, s1, v2
	v_add_f32_e32 v2, v4, v6
	v_add_f32_e32 v3, v5, v3
	global_store_dwordx2 v[0:1], v[2:3], off
.LBB2_9:
	s_endpgm
	.section	.rodata,"a",@progbits
	.p2align	6, 0x0
	.amdhsa_kernel _ZN9rocsolver6v33100L11gemm_kernelI19rocblas_complex_numIfEiPKS3_PS3_S6_S6_EEvT0_S7_S7_T1_bT2_lS7_S7_lbT3_lS7_S7_lS8_T4_lS7_S7_l
		.amdhsa_group_segment_fixed_size 0
		.amdhsa_private_segment_fixed_size 0
		.amdhsa_kernarg_size 400
		.amdhsa_user_sgpr_count 6
		.amdhsa_user_sgpr_private_segment_buffer 1
		.amdhsa_user_sgpr_dispatch_ptr 0
		.amdhsa_user_sgpr_queue_ptr 0
		.amdhsa_user_sgpr_kernarg_segment_ptr 1
		.amdhsa_user_sgpr_dispatch_id 0
		.amdhsa_user_sgpr_flat_scratch_init 0
		.amdhsa_user_sgpr_kernarg_preload_length 0
		.amdhsa_user_sgpr_kernarg_preload_offset 0
		.amdhsa_user_sgpr_private_segment_size 0
		.amdhsa_uses_dynamic_stack 0
		.amdhsa_system_sgpr_private_segment_wavefront_offset 0
		.amdhsa_system_sgpr_workgroup_id_x 1
		.amdhsa_system_sgpr_workgroup_id_y 1
		.amdhsa_system_sgpr_workgroup_id_z 1
		.amdhsa_system_sgpr_workgroup_info 0
		.amdhsa_system_vgpr_workitem_id 1
		.amdhsa_next_free_vgpr 14
		.amdhsa_next_free_sgpr 40
		.amdhsa_accum_offset 16
		.amdhsa_reserve_vcc 1
		.amdhsa_reserve_flat_scratch 0
		.amdhsa_float_round_mode_32 0
		.amdhsa_float_round_mode_16_64 0
		.amdhsa_float_denorm_mode_32 3
		.amdhsa_float_denorm_mode_16_64 3
		.amdhsa_dx10_clamp 1
		.amdhsa_ieee_mode 1
		.amdhsa_fp16_overflow 0
		.amdhsa_tg_split 0
		.amdhsa_exception_fp_ieee_invalid_op 0
		.amdhsa_exception_fp_denorm_src 0
		.amdhsa_exception_fp_ieee_div_zero 0
		.amdhsa_exception_fp_ieee_overflow 0
		.amdhsa_exception_fp_ieee_underflow 0
		.amdhsa_exception_fp_ieee_inexact 0
		.amdhsa_exception_int_div_zero 0
	.end_amdhsa_kernel
	.section	.text._ZN9rocsolver6v33100L11gemm_kernelI19rocblas_complex_numIfEiPKS3_PS3_S6_S6_EEvT0_S7_S7_T1_bT2_lS7_S7_lbT3_lS7_S7_lS8_T4_lS7_S7_l,"axG",@progbits,_ZN9rocsolver6v33100L11gemm_kernelI19rocblas_complex_numIfEiPKS3_PS3_S6_S6_EEvT0_S7_S7_T1_bT2_lS7_S7_lbT3_lS7_S7_lS8_T4_lS7_S7_l,comdat
.Lfunc_end2:
	.size	_ZN9rocsolver6v33100L11gemm_kernelI19rocblas_complex_numIfEiPKS3_PS3_S6_S6_EEvT0_S7_S7_T1_bT2_lS7_S7_lbT3_lS7_S7_lS8_T4_lS7_S7_l, .Lfunc_end2-_ZN9rocsolver6v33100L11gemm_kernelI19rocblas_complex_numIfEiPKS3_PS3_S6_S6_EEvT0_S7_S7_T1_bT2_lS7_S7_lbT3_lS7_S7_lS8_T4_lS7_S7_l
                                        ; -- End function
	.section	.AMDGPU.csdata,"",@progbits
; Kernel info:
; codeLenInByte = 668
; NumSgprs: 44
; NumVgprs: 14
; NumAgprs: 0
; TotalNumVgprs: 14
; ScratchSize: 0
; MemoryBound: 0
; FloatMode: 240
; IeeeMode: 1
; LDSByteSize: 0 bytes/workgroup (compile time only)
; SGPRBlocks: 5
; VGPRBlocks: 1
; NumSGPRsForWavesPerEU: 44
; NumVGPRsForWavesPerEU: 14
; AccumOffset: 16
; Occupancy: 8
; WaveLimiterHint : 1
; COMPUTE_PGM_RSRC2:SCRATCH_EN: 0
; COMPUTE_PGM_RSRC2:USER_SGPR: 6
; COMPUTE_PGM_RSRC2:TRAP_HANDLER: 0
; COMPUTE_PGM_RSRC2:TGID_X_EN: 1
; COMPUTE_PGM_RSRC2:TGID_Y_EN: 1
; COMPUTE_PGM_RSRC2:TGID_Z_EN: 1
; COMPUTE_PGM_RSRC2:TIDIG_COMP_CNT: 1
; COMPUTE_PGM_RSRC3_GFX90A:ACCUM_OFFSET: 3
; COMPUTE_PGM_RSRC3_GFX90A:TG_SPLIT: 0
	.section	.text._ZN9rocsolver6v33100L11gemm_kernelI19rocblas_complex_numIfEiS3_PS3_S4_S4_EEvT0_S5_S5_T1_bT2_lS5_S5_lbT3_lS5_S5_lS6_T4_lS5_S5_l,"axG",@progbits,_ZN9rocsolver6v33100L11gemm_kernelI19rocblas_complex_numIfEiS3_PS3_S4_S4_EEvT0_S5_S5_T1_bT2_lS5_S5_lbT3_lS5_S5_lS6_T4_lS5_S5_l,comdat
	.globl	_ZN9rocsolver6v33100L11gemm_kernelI19rocblas_complex_numIfEiS3_PS3_S4_S4_EEvT0_S5_S5_T1_bT2_lS5_S5_lbT3_lS5_S5_lS6_T4_lS5_S5_l ; -- Begin function _ZN9rocsolver6v33100L11gemm_kernelI19rocblas_complex_numIfEiS3_PS3_S4_S4_EEvT0_S5_S5_T1_bT2_lS5_S5_lbT3_lS5_S5_lS6_T4_lS5_S5_l
	.p2align	8
	.type	_ZN9rocsolver6v33100L11gemm_kernelI19rocblas_complex_numIfEiS3_PS3_S4_S4_EEvT0_S5_S5_T1_bT2_lS5_S5_lbT3_lS5_S5_lS6_T4_lS5_S5_l,@function
_ZN9rocsolver6v33100L11gemm_kernelI19rocblas_complex_numIfEiS3_PS3_S4_S4_EEvT0_S5_S5_T1_bT2_lS5_S5_lbT3_lS5_S5_lS6_T4_lS5_S5_l: ; @_ZN9rocsolver6v33100L11gemm_kernelI19rocblas_complex_numIfEiS3_PS3_S4_S4_EEvT0_S5_S5_T1_bT2_lS5_S5_lbT3_lS5_S5_lS6_T4_lS5_S5_l
; %bb.0:
	s_load_dword s9, s[4:5], 0x94
	s_load_dwordx4 s[0:3], s[4:5], 0x0
	v_and_b32_e32 v1, 0x3ff, v0
	v_bfe_u32 v0, v0, 10, 10
	s_waitcnt lgkmcnt(0)
	s_lshr_b32 s10, s9, 16
	s_and_b32 s9, s9, 0xffff
	s_mul_i32 s6, s6, s9
	s_mul_i32 s7, s7, s10
	v_add_u32_e32 v8, s6, v1
	v_add_u32_e32 v9, s7, v0
	v_cmp_gt_i32_e32 vcc, s0, v8
	v_cmp_gt_i32_e64 s[0:1], s1, v9
	s_and_b64 s[0:1], vcc, s[0:1]
	s_and_saveexec_b64 s[6:7], s[0:1]
	s_cbranch_execz .LBB3_9
; %bb.1:
	s_load_dwordx2 s[6:7], s[4:5], 0x10
	s_load_dwordx2 s[0:1], s[4:5], 0x60
	s_ashr_i32 s9, s8, 31
	s_cmp_lt_i32 s2, 1
	v_mov_b32_e32 v10, 0
	v_mov_b32_e32 v11, 0
	s_cbranch_scc1 .LBB3_8
; %bb.2:
	s_waitcnt lgkmcnt(0)
	s_bitcmp1_b32 s7, 0
	s_load_dword s7, s[4:5], 0x38
	s_load_dwordx8 s[12:19], s[4:5], 0x18
	s_cselect_b64 s[10:11], -1, 0
	s_xor_b64 s[10:11], s[10:11], -1
	s_load_dwordx8 s[20:27], s[4:5], 0x40
	s_waitcnt lgkmcnt(0)
	s_bitcmp1_b32 s7, 0
	s_mul_i32 s7, s8, s19
	s_mul_hi_u32 s19, s8, s18
	s_cselect_b64 s[28:29], -1, 0
	s_add_i32 s7, s19, s7
	s_mul_i32 s19, s9, s18
	s_add_i32 s19, s7, s19
	s_mul_i32 s18, s8, s18
	s_lshl_b64 s[18:19], s[18:19], 3
	s_add_u32 s7, s12, s18
	s_addc_u32 s18, s13, s19
	s_lshl_b64 s[12:13], s[14:15], 3
	s_add_u32 s7, s7, s12
	s_addc_u32 s15, s18, s13
	s_mul_i32 s12, s8, s27
	s_mul_hi_u32 s13, s8, s26
	s_add_i32 s12, s13, s12
	s_mul_i32 s13, s9, s26
	s_add_i32 s13, s12, s13
	s_mul_i32 s12, s8, s26
	s_lshl_b64 s[12:13], s[12:13], 3
	s_add_u32 s14, s20, s12
	s_addc_u32 s18, s21, s13
	s_lshl_b64 s[12:13], s[22:23], 3
	s_add_u32 s14, s14, s12
	s_addc_u32 s12, s18, s13
	v_mul_lo_u32 v0, v8, s16
	v_mul_lo_u32 v2, v9, s25
	v_mov_b32_e32 v10, 0
	v_mov_b32_e32 v12, s15
	;; [unrolled: 1-line block ×4, first 2 shown]
	s_branch .LBB3_4
.LBB3_3:                                ;   in Loop: Header=BB3_4 Depth=1
	v_ashrrev_i32_e32 v3, 31, v2
	v_lshlrev_b64 v[6:7], 3, v[2:3]
	v_add_co_u32_e32 v6, vcc, s14, v6
	v_addc_co_u32_e32 v7, vcc, v13, v7, vcc
	global_load_dwordx2 v[6:7], v[6:7], off
	s_add_i32 s2, s2, -1
	v_add_u32_e32 v2, s24, v2
	s_cmp_eq_u32 s2, 0
	v_add_u32_e32 v0, s17, v0
	s_waitcnt vmcnt(0)
	v_cndmask_b32_e64 v1, v7, -v7, s[28:29]
	v_mul_f32_e32 v3, v6, v5
	v_mul_f32_e32 v5, v1, v5
	v_fmac_f32_e32 v3, v1, v4
	v_fma_f32 v1, v6, v4, -v5
	v_add_f32_e32 v10, v10, v3
	v_add_f32_e32 v11, v11, v1
	s_cbranch_scc1 .LBB3_8
.LBB3_4:                                ; =>This Inner Loop Header: Depth=1
	v_ashrrev_i32_e32 v1, 31, v0
	v_lshlrev_b64 v[4:5], 3, v[0:1]
	v_add_co_u32_e32 v6, vcc, s7, v4
	v_addc_co_u32_e32 v7, vcc, v12, v5, vcc
	s_and_b64 vcc, exec, s[10:11]
	s_cbranch_vccz .LBB3_6
; %bb.5:                                ;   in Loop: Header=BB3_4 Depth=1
	global_load_dwordx2 v[4:5], v[6:7], off
	s_cbranch_execnz .LBB3_3
	s_branch .LBB3_7
.LBB3_6:                                ;   in Loop: Header=BB3_4 Depth=1
                                        ; implicit-def: $vgpr5
.LBB3_7:                                ;   in Loop: Header=BB3_4 Depth=1
	global_load_dwordx2 v[4:5], v[6:7], off
	s_waitcnt vmcnt(0)
	v_xor_b32_e32 v5, 0x80000000, v5
	s_branch .LBB3_3
.LBB3_8:
	s_load_dwordx8 s[12:19], s[4:5], 0x68
	s_waitcnt lgkmcnt(0)
	v_mul_f32_e32 v4, s6, v10
	v_mul_f32_e32 v5, s3, v10
	v_fma_f32 v4, s3, v11, -v4
	v_fmac_f32_e32 v5, s6, v11
	s_mul_i32 s2, s8, s19
	s_mul_hi_u32 s5, s8, s18
	s_mul_i32 s7, s9, s18
	s_add_i32 s2, s5, s2
	s_mul_i32 s4, s8, s18
	s_add_i32 s5, s2, s7
	s_lshl_b64 s[4:5], s[4:5], 3
	s_add_u32 s2, s12, s4
	s_addc_u32 s7, s13, s5
	s_lshl_b64 s[4:5], s[14:15], 3
	s_add_u32 s2, s2, s4
	v_mul_lo_u32 v0, v8, s16
	s_addc_u32 s7, s7, s5
	v_mad_u64_u32 v[0:1], s[4:5], v9, s17, v[0:1]
	v_ashrrev_i32_e32 v1, 31, v0
	v_lshlrev_b64 v[0:1], 3, v[0:1]
	v_mov_b32_e32 v2, s7
	v_add_co_u32_e32 v0, vcc, s2, v0
	v_addc_co_u32_e32 v1, vcc, v2, v1, vcc
	global_load_dwordx2 v[2:3], v[0:1], off
	s_waitcnt vmcnt(0)
	v_mul_f32_e32 v6, s1, v3
	v_mul_f32_e32 v3, s0, v3
	v_fma_f32 v6, s0, v2, -v6
	v_fmac_f32_e32 v3, s1, v2
	v_add_f32_e32 v2, v4, v6
	v_add_f32_e32 v3, v5, v3
	global_store_dwordx2 v[0:1], v[2:3], off
.LBB3_9:
	s_endpgm
	.section	.rodata,"a",@progbits
	.p2align	6, 0x0
	.amdhsa_kernel _ZN9rocsolver6v33100L11gemm_kernelI19rocblas_complex_numIfEiS3_PS3_S4_S4_EEvT0_S5_S5_T1_bT2_lS5_S5_lbT3_lS5_S5_lS6_T4_lS5_S5_l
		.amdhsa_group_segment_fixed_size 0
		.amdhsa_private_segment_fixed_size 0
		.amdhsa_kernarg_size 392
		.amdhsa_user_sgpr_count 6
		.amdhsa_user_sgpr_private_segment_buffer 1
		.amdhsa_user_sgpr_dispatch_ptr 0
		.amdhsa_user_sgpr_queue_ptr 0
		.amdhsa_user_sgpr_kernarg_segment_ptr 1
		.amdhsa_user_sgpr_dispatch_id 0
		.amdhsa_user_sgpr_flat_scratch_init 0
		.amdhsa_user_sgpr_kernarg_preload_length 0
		.amdhsa_user_sgpr_kernarg_preload_offset 0
		.amdhsa_user_sgpr_private_segment_size 0
		.amdhsa_uses_dynamic_stack 0
		.amdhsa_system_sgpr_private_segment_wavefront_offset 0
		.amdhsa_system_sgpr_workgroup_id_x 1
		.amdhsa_system_sgpr_workgroup_id_y 1
		.amdhsa_system_sgpr_workgroup_id_z 1
		.amdhsa_system_sgpr_workgroup_info 0
		.amdhsa_system_vgpr_workitem_id 1
		.amdhsa_next_free_vgpr 14
		.amdhsa_next_free_sgpr 30
		.amdhsa_accum_offset 16
		.amdhsa_reserve_vcc 1
		.amdhsa_reserve_flat_scratch 0
		.amdhsa_float_round_mode_32 0
		.amdhsa_float_round_mode_16_64 0
		.amdhsa_float_denorm_mode_32 3
		.amdhsa_float_denorm_mode_16_64 3
		.amdhsa_dx10_clamp 1
		.amdhsa_ieee_mode 1
		.amdhsa_fp16_overflow 0
		.amdhsa_tg_split 0
		.amdhsa_exception_fp_ieee_invalid_op 0
		.amdhsa_exception_fp_denorm_src 0
		.amdhsa_exception_fp_ieee_div_zero 0
		.amdhsa_exception_fp_ieee_overflow 0
		.amdhsa_exception_fp_ieee_underflow 0
		.amdhsa_exception_fp_ieee_inexact 0
		.amdhsa_exception_int_div_zero 0
	.end_amdhsa_kernel
	.section	.text._ZN9rocsolver6v33100L11gemm_kernelI19rocblas_complex_numIfEiS3_PS3_S4_S4_EEvT0_S5_S5_T1_bT2_lS5_S5_lbT3_lS5_S5_lS6_T4_lS5_S5_l,"axG",@progbits,_ZN9rocsolver6v33100L11gemm_kernelI19rocblas_complex_numIfEiS3_PS3_S4_S4_EEvT0_S5_S5_T1_bT2_lS5_S5_lbT3_lS5_S5_lS6_T4_lS5_S5_l,comdat
.Lfunc_end3:
	.size	_ZN9rocsolver6v33100L11gemm_kernelI19rocblas_complex_numIfEiS3_PS3_S4_S4_EEvT0_S5_S5_T1_bT2_lS5_S5_lbT3_lS5_S5_lS6_T4_lS5_S5_l, .Lfunc_end3-_ZN9rocsolver6v33100L11gemm_kernelI19rocblas_complex_numIfEiS3_PS3_S4_S4_EEvT0_S5_S5_T1_bT2_lS5_S5_lbT3_lS5_S5_lS6_T4_lS5_S5_l
                                        ; -- End function
	.section	.AMDGPU.csdata,"",@progbits
; Kernel info:
; codeLenInByte = 636
; NumSgprs: 34
; NumVgprs: 14
; NumAgprs: 0
; TotalNumVgprs: 14
; ScratchSize: 0
; MemoryBound: 0
; FloatMode: 240
; IeeeMode: 1
; LDSByteSize: 0 bytes/workgroup (compile time only)
; SGPRBlocks: 4
; VGPRBlocks: 1
; NumSGPRsForWavesPerEU: 34
; NumVGPRsForWavesPerEU: 14
; AccumOffset: 16
; Occupancy: 8
; WaveLimiterHint : 0
; COMPUTE_PGM_RSRC2:SCRATCH_EN: 0
; COMPUTE_PGM_RSRC2:USER_SGPR: 6
; COMPUTE_PGM_RSRC2:TRAP_HANDLER: 0
; COMPUTE_PGM_RSRC2:TGID_X_EN: 1
; COMPUTE_PGM_RSRC2:TGID_Y_EN: 1
; COMPUTE_PGM_RSRC2:TGID_Z_EN: 1
; COMPUTE_PGM_RSRC2:TIDIG_COMP_CNT: 1
; COMPUTE_PGM_RSRC3_GFX90A:ACCUM_OFFSET: 3
; COMPUTE_PGM_RSRC3_GFX90A:TG_SPLIT: 0
	.section	.text._ZN9rocsolver6v33100L16mfma_gemm_kernelI19rocblas_complex_numIfEiPKS3_PKPS3_S8_S8_EEv18rocblas_operation_S9_T0_SA_SA_T1_T2_lSA_SA_lT3_lSA_SA_lSB_T4_lSA_SA_l,"axG",@progbits,_ZN9rocsolver6v33100L16mfma_gemm_kernelI19rocblas_complex_numIfEiPKS3_PKPS3_S8_S8_EEv18rocblas_operation_S9_T0_SA_SA_T1_T2_lSA_SA_lT3_lSA_SA_lSB_T4_lSA_SA_l,comdat
	.globl	_ZN9rocsolver6v33100L16mfma_gemm_kernelI19rocblas_complex_numIfEiPKS3_PKPS3_S8_S8_EEv18rocblas_operation_S9_T0_SA_SA_T1_T2_lSA_SA_lT3_lSA_SA_lSB_T4_lSA_SA_l ; -- Begin function _ZN9rocsolver6v33100L16mfma_gemm_kernelI19rocblas_complex_numIfEiPKS3_PKPS3_S8_S8_EEv18rocblas_operation_S9_T0_SA_SA_T1_T2_lSA_SA_lT3_lSA_SA_lSB_T4_lSA_SA_l
	.p2align	8
	.type	_ZN9rocsolver6v33100L16mfma_gemm_kernelI19rocblas_complex_numIfEiPKS3_PKPS3_S8_S8_EEv18rocblas_operation_S9_T0_SA_SA_T1_T2_lSA_SA_lT3_lSA_SA_lSB_T4_lSA_SA_l,@function
_ZN9rocsolver6v33100L16mfma_gemm_kernelI19rocblas_complex_numIfEiPKS3_PKPS3_S8_S8_EEv18rocblas_operation_S9_T0_SA_SA_T1_T2_lSA_SA_lT3_lSA_SA_lSB_T4_lSA_SA_l: ; @_ZN9rocsolver6v33100L16mfma_gemm_kernelI19rocblas_complex_numIfEiPKS3_PKPS3_S8_S8_EEv18rocblas_operation_S9_T0_SA_SA_T1_T2_lSA_SA_lT3_lSA_SA_lSB_T4_lSA_SA_l
; %bb.0:
	s_load_dword s0, s[6:7], 0x94
	s_load_dwordx4 s[12:15], s[6:7], 0x0
	v_and_b32_e32 v17, 0x3ff, v0
	v_bfe_u32 v1, v0, 10, 10
	v_lshrrev_b32_e32 v2, 6, v17
	s_waitcnt lgkmcnt(0)
	s_lshr_b32 s1, s0, 16
	s_bfe_u32 s0, s0, 0xa0006
	s_mul_i32 s8, s8, s0
	s_mul_i32 s9, s9, s1
	v_add_lshl_u32 v18, s8, v2, 4
	v_add_u32_e32 v2, s9, v1
	v_lshlrev_b32_e32 v19, 4, v2
	v_cmp_gt_i32_e32 vcc, s14, v18
	v_cmp_gt_i32_e64 s[0:1], s15, v19
	s_and_b64 s[0:1], vcc, s[0:1]
	s_and_saveexec_b64 s[2:3], s[0:1]
	s_cbranch_execz .LBB4_37
; %bb.1:
	s_load_dwordx2 s[8:9], s[4:5], 0x4
	s_load_dword s30, s[6:7], 0x10
	s_load_dwordx4 s[0:3], s[6:7], 0x18
	s_load_dwordx2 s[18:19], s[6:7], 0x70
	s_load_dwordx4 s[20:23], s[6:7], 0x60
	s_waitcnt lgkmcnt(0)
	s_lshr_b32 s4, s8, 16
	s_mul_i32 s4, s4, s9
	v_mul_lo_u32 v2, s4, v17
	s_ashr_i32 s4, s14, 31
	s_lshr_b32 s4, s4, 28
	s_add_i32 s4, s14, s4
	s_and_b32 s4, s4, -16
	v_mul_u32_u24_e32 v1, s9, v1
	v_bfe_u32 v0, v0, 20, 10
	s_sub_i32 s4, s14, s4
	v_add3_u32 v0, v2, v1, v0
	v_mov_b32_e32 v1, s4
	s_ashr_i32 s4, s15, 31
	s_lshr_b32 s4, s4, 28
	s_add_i32 s4, s15, s4
	v_mul_lo_u32 v23, v0, 20
	v_add_u32_e32 v0, 16, v18
	s_and_b32 s4, s4, -16
	v_cmp_lt_i32_e32 vcc, s14, v0
	s_sub_i32 s4, s15, s4
	s_ashr_i32 s11, s10, 31
	v_cndmask_b32_e32 v16, 16, v1, vcc
	v_add_u32_e32 v0, 16, v19
	v_mov_b32_e32 v1, s4
	s_lshl_b64 s[4:5], s[10:11], 3
	v_cmp_lt_i32_e32 vcc, s15, v0
	s_load_dwordx2 s[16:17], s[0:1], 0x0
	s_load_dwordx2 s[14:15], s[20:21], 0x0
	s_add_u32 s0, s22, s4
	s_addc_u32 s1, s23, s5
	s_load_dwordx2 s[20:21], s[0:1], 0x0
	v_cndmask_b32_e32 v20, 16, v1, vcc
	v_bfe_u32 v21, v17, 2, 4
	v_and_b32_e32 v22, 3, v17
	s_cmp_lt_i32 s30, 1
	v_mov_b32_e32 v1, 0
	s_mov_b32 s31, 0
	v_cmp_lt_i32_e64 s[0:1], v21, v20
	v_mbcnt_lo_u32_b32 v24, -1, 0
	v_mov_b32_e32 v2, 0
	v_mov_b32_e32 v13, 0
	;; [unrolled: 1-line block ×7, first 2 shown]
	ds_write2_b32 v23, v1, v1 offset0:2 offset1:3
	ds_write2_b32 v23, v1, v1 offset1:1
	ds_write_b32 v23, v1 offset:16
	s_cbranch_scc1 .LBB4_29
; %bb.2:
	s_add_u32 s2, s2, s4
	s_addc_u32 s3, s3, s5
	s_load_dwordx4 s[8:11], s[6:7], 0x28
	s_load_dwordx2 s[22:23], s[2:3], 0x0
	s_load_dwordx4 s[24:27], s[6:7], 0x40
	s_load_dwordx2 s[28:29], s[6:7], 0x50
	v_and_b32_e32 v2, 63, v17
	s_waitcnt lgkmcnt(0)
	s_lshl_b64 s[2:3], s[8:9], 3
	s_add_u32 s8, s22, s2
	s_addc_u32 s9, s23, s3
	s_add_u32 s2, s24, s4
	s_addc_u32 s3, s25, s5
	s_load_dwordx2 s[2:3], s[2:3], 0x0
	s_lshl_b64 s[4:5], s[26:27], 3
	v_mov_b32_e32 v3, s9
	v_lshrrev_b32_e32 v29, 4, v2
	s_waitcnt lgkmcnt(0)
	s_add_u32 s2, s2, s4
	s_addc_u32 s3, s3, s5
	s_cmpk_lg_i32 s12, 0x6f
	s_cselect_b64 s[22:23], -1, 0
	s_cmpk_eq_i32 s12, 0x6f
	s_cselect_b32 s4, s10, s11
	v_mul_lo_u32 v0, v18, s4
	s_cmpk_lg_i32 s13, 0x6f
	v_ashrrev_i32_e32 v1, 31, v0
	s_cselect_b64 s[24:25], -1, 0
	s_cmpk_eq_i32 s13, 0x6f
	v_lshlrev_b64 v[0:1], 3, v[0:1]
	s_cselect_b32 s4, s29, s28
	v_add_co_u32_e32 v25, vcc, s8, v0
	v_mul_lo_u32 v0, v19, s4
	v_addc_co_u32_e32 v26, vcc, v3, v1, vcc
	v_ashrrev_i32_e32 v1, 31, v0
	v_lshlrev_b64 v[0:1], 3, v[0:1]
	v_mov_b32_e32 v3, s3
	v_add_co_u32_e32 v27, vcc, s2, v0
	v_addc_co_u32_e32 v28, vcc, v3, v1, vcc
	v_and_b32_e32 v1, 15, v17
	v_mul_lo_u32 v0, v1, s10
	s_cmpk_eq_i32 s12, 0x71
	v_mad_u64_u32 v[4:5], s[34:35], s11, v29, v[0:1]
	v_mul_lo_u32 v0, s10, v22
	s_cselect_b64 s[26:27], -1, 0
	s_cmpk_eq_i32 s13, 0x71
	v_mad_u64_u32 v[6:7], s[34:35], v21, s11, v[0:1]
	v_mul_lo_u32 v0, s28, v22
	v_lshl_or_b32 v3, v1, 2, v29
	v_cmp_lt_i32_e64 s[4:5], v1, v16
	v_cmp_lt_i32_e64 s[8:9], v1, v20
	v_mul_lo_u32 v2, v1, s28
	s_cselect_b64 s[12:13], -1, 0
	s_lshl_b32 s33, s11, 2
	s_lshl_b32 s34, s10, 2
	v_mad_u64_u32 v[8:9], s[10:11], v21, s29, v[0:1]
	v_mbcnt_hi_u32_b32 v1, -1, v24
	v_mov_b32_e32 v0, 0
	v_and_or_b32 v1, v1, 64, v3
	v_cmp_lt_i32_e64 s[2:3], v21, v16
	s_lshl_b32 s35, s28, 2
	v_mad_u64_u32 v[10:11], s[10:11], s29, v29, v[2:3]
	s_lshl_b32 s36, s29, 2
	v_lshlrev_b32_e32 v30, 2, v1
	v_mov_b32_e32 v3, v0
	v_mov_b32_e32 v2, v0
	;; [unrolled: 1-line block ×3, first 2 shown]
	s_branch .LBB4_6
.LBB4_3:                                ;   in Loop: Header=BB4_6 Depth=1
	s_or_b64 exec, exec, s[28:29]
.LBB4_4:                                ;   in Loop: Header=BB4_6 Depth=1
	s_or_b64 exec, exec, s[10:11]
	s_waitcnt vmcnt(0)
	ds_bpermute_b32 v14, v30, v14
	ds_bpermute_b32 v15, v30, v15
.LBB4_5:                                ;   in Loop: Header=BB4_6 Depth=1
	s_waitcnt vmcnt(0) lgkmcnt(0)
	v_cndmask_b32_e64 v7, v13, -v13, s[26:27]
	v_cndmask_b32_e64 v5, v15, -v15, s[12:13]
	v_mfma_f32_16x16x4f32 v[32:35], v12, v14, 0
	s_add_i32 s31, s31, 4
	v_add_u32_e32 v4, s33, v4
	v_add_u32_e32 v6, s34, v6
	v_add_u32_e32 v8, s35, v8
	s_cmp_ge_i32 s31, s30
	v_add_u32_e32 v10, s36, v10
	v_mfma_f32_16x16x4f32 v[40:43], v7, v5, 0
	v_mfma_f32_16x16x4f32 v[36:39], v12, v5, 0
	ds_read2_b32 v[12:13], v23 offset1:1
	ds_read2_b32 v[44:45], v23 offset0:3 offset1:4
	ds_read2_b32 v[46:47], v23 offset0:2 offset1:3
	;; [unrolled: 1-line block ×3, first 2 shown]
	s_nop 5
	v_sub_f32_e32 v35, v35, v43
	v_sub_f32_e32 v34, v34, v42
	;; [unrolled: 1-line block ×4, first 2 shown]
	s_waitcnt lgkmcnt(1)
	v_mov_b32_e32 v13, v46
	v_pk_add_f32 v[12:13], v[12:13], v[32:33]
	v_pk_add_f32 v[0:1], v[0:1], v[34:35]
	v_mfma_f32_16x16x4f32 v[32:35], v7, v14, 0
	s_waitcnt lgkmcnt(0)
	v_mov_b32_e32 v49, v44
	s_nop 7
	s_nop 0
	v_pk_add_f32 v[14:15], v[38:39], v[34:35]
	v_pk_add_f32 v[32:33], v[36:37], v[32:33]
	;; [unrolled: 1-line block ×4, first 2 shown]
	ds_write2_b32 v23, v12, v14 offset1:1
	v_mov_b32_e32 v12, v13
	v_mov_b32_e32 v5, v15
	ds_write2_b32 v23, v13, v15 offset0:2 offset1:3
	ds_write_b32 v23, v0 offset:16
	s_cbranch_scc1 .LBB4_28
.LBB4_6:                                ; =>This Inner Loop Header: Depth=1
	s_and_b64 vcc, exec, s[22:23]
	s_cbranch_vccz .LBB4_18
; %bb.7:                                ;   in Loop: Header=BB4_6 Depth=1
	v_mov_b32_e32 v12, 0
	v_mov_b32_e32 v13, 0
	s_and_saveexec_b64 s[10:11], s[2:3]
	s_cbranch_execz .LBB4_11
; %bb.8:                                ;   in Loop: Header=BB4_6 Depth=1
	v_add_u32_e32 v5, s31, v22
	v_cmp_gt_i32_e32 vcc, s30, v5
	v_mov_b32_e32 v13, 0
	v_mov_b32_e32 v12, 0
	s_and_saveexec_b64 s[28:29], vcc
	s_cbranch_execz .LBB4_10
; %bb.9:                                ;   in Loop: Header=BB4_6 Depth=1
	v_ashrrev_i32_e32 v7, 31, v6
	v_lshlrev_b64 v[12:13], 3, v[6:7]
	v_add_co_u32_e32 v12, vcc, v25, v12
	v_addc_co_u32_e32 v13, vcc, v26, v13, vcc
	global_load_dwordx2 v[12:13], v[12:13], off
.LBB4_10:                               ;   in Loop: Header=BB4_6 Depth=1
	s_or_b64 exec, exec, s[28:29]
.LBB4_11:                               ;   in Loop: Header=BB4_6 Depth=1
	s_or_b64 exec, exec, s[10:11]
	s_waitcnt vmcnt(0)
	ds_bpermute_b32 v12, v30, v12
	ds_bpermute_b32 v13, v30, v13
.LBB4_12:                               ;   in Loop: Header=BB4_6 Depth=1
	s_and_b64 vcc, exec, s[24:25]
	s_cbranch_vccz .LBB4_24
.LBB4_13:                               ;   in Loop: Header=BB4_6 Depth=1
	v_mov_b32_e32 v15, 0
	v_mov_b32_e32 v14, 0
	s_and_saveexec_b64 s[10:11], s[8:9]
	s_cbranch_execz .LBB4_17
; %bb.14:                               ;   in Loop: Header=BB4_6 Depth=1
	v_add_u32_e32 v5, s31, v29
	v_cmp_gt_i32_e32 vcc, s30, v5
	v_mov_b32_e32 v15, 0
	v_mov_b32_e32 v14, 0
	s_and_saveexec_b64 s[28:29], vcc
	s_cbranch_execz .LBB4_16
; %bb.15:                               ;   in Loop: Header=BB4_6 Depth=1
	v_ashrrev_i32_e32 v11, 31, v10
	v_lshlrev_b64 v[14:15], 3, v[10:11]
	v_add_co_u32_e32 v14, vcc, v27, v14
	v_addc_co_u32_e32 v15, vcc, v28, v15, vcc
	global_load_dwordx2 v[14:15], v[14:15], off
.LBB4_16:                               ;   in Loop: Header=BB4_6 Depth=1
	s_or_b64 exec, exec, s[28:29]
.LBB4_17:                               ;   in Loop: Header=BB4_6 Depth=1
	s_or_b64 exec, exec, s[10:11]
	s_cbranch_execnz .LBB4_5
	s_branch .LBB4_25
.LBB4_18:                               ;   in Loop: Header=BB4_6 Depth=1
                                        ; implicit-def: $vgpr13
	s_cbranch_execz .LBB4_12
; %bb.19:                               ;   in Loop: Header=BB4_6 Depth=1
	s_waitcnt lgkmcnt(0)
	v_mov_b32_e32 v13, 0
	v_mov_b32_e32 v12, 0
	s_and_saveexec_b64 s[10:11], s[4:5]
	s_cbranch_execz .LBB4_23
; %bb.20:                               ;   in Loop: Header=BB4_6 Depth=1
	v_add_u32_e32 v5, s31, v29
	v_cmp_gt_i32_e32 vcc, s30, v5
	v_mov_b32_e32 v13, 0
	v_mov_b32_e32 v12, 0
	s_and_saveexec_b64 s[28:29], vcc
	s_cbranch_execz .LBB4_22
; %bb.21:                               ;   in Loop: Header=BB4_6 Depth=1
	v_ashrrev_i32_e32 v5, 31, v4
	v_lshlrev_b64 v[12:13], 3, v[4:5]
	v_add_co_u32_e32 v12, vcc, v25, v12
	v_addc_co_u32_e32 v13, vcc, v26, v13, vcc
	global_load_dwordx2 v[12:13], v[12:13], off
.LBB4_22:                               ;   in Loop: Header=BB4_6 Depth=1
	s_or_b64 exec, exec, s[28:29]
.LBB4_23:                               ;   in Loop: Header=BB4_6 Depth=1
	s_or_b64 exec, exec, s[10:11]
	s_and_b64 vcc, exec, s[24:25]
	s_cbranch_vccnz .LBB4_13
.LBB4_24:                               ;   in Loop: Header=BB4_6 Depth=1
                                        ; implicit-def: $vgpr15
.LBB4_25:                               ;   in Loop: Header=BB4_6 Depth=1
	s_waitcnt vmcnt(0)
	v_mov_b32_e32 v14, 0
	v_mov_b32_e32 v15, 0
	s_and_saveexec_b64 s[10:11], s[0:1]
	s_cbranch_execz .LBB4_4
; %bb.26:                               ;   in Loop: Header=BB4_6 Depth=1
	v_add_u32_e32 v5, s31, v22
	v_cmp_gt_i32_e32 vcc, s30, v5
	v_mov_b32_e32 v15, 0
	v_mov_b32_e32 v14, 0
	s_and_saveexec_b64 s[28:29], vcc
	s_cbranch_execz .LBB4_3
; %bb.27:                               ;   in Loop: Header=BB4_6 Depth=1
	v_ashrrev_i32_e32 v9, 31, v8
	v_lshlrev_b64 v[14:15], 3, v[8:9]
	v_add_co_u32_e32 v14, vcc, v27, v14
	v_addc_co_u32_e32 v15, vcc, v28, v15, vcc
	global_load_dwordx2 v[14:15], v[14:15], off
	s_branch .LBB4_3
.LBB4_28:
	ds_read_b32 v4, v23
.LBB4_29:
	s_load_dwordx2 s[2:3], s[6:7], 0x78
	s_lshl_b64 s[0:1], s[18:19], 3
	s_waitcnt lgkmcnt(0)
	s_add_u32 s4, s20, s0
	s_addc_u32 s5, s21, s1
	v_mov_b32_e32 v8, s5
	v_mul_lo_u32 v6, v18, s2
	v_mad_u64_u32 v[6:7], s[0:1], v19, s3, v[6:7]
	v_ashrrev_i32_e32 v7, 31, v6
	v_lshlrev_b64 v[6:7], 3, v[6:7]
	v_add_co_u32_e32 v5, vcc, s4, v6
	v_addc_co_u32_e32 v6, vcc, v8, v7, vcc
	v_lshlrev_b32_e32 v8, 4, v17
	v_mbcnt_hi_u32_b32 v9, -1, v24
	v_and_b32_e32 v8, 48, v8
	v_and_b32_e32 v9, 64, v9
	v_or3_b32 v8, v8, v9, v21
	v_lshlrev_b32_e32 v8, 2, v8
	ds_bpermute_b32 v9, v8, v4
	ds_bpermute_b32 v10, v8, v14
	v_lshlrev_b32_e32 v7, 2, v22
	v_cmp_lt_i32_e32 vcc, v21, v20
	v_cmp_lt_i32_e64 s[0:1], v7, v16
	v_mul_lo_u32 v4, v21, s3
	s_and_b64 s[0:1], vcc, s[0:1]
	s_and_saveexec_b64 s[4:5], s[0:1]
	s_cbranch_execz .LBB4_31
; %bb.30:
	v_mad_u64_u32 v[18:19], s[0:1], v7, s2, v[4:5]
	v_ashrrev_i32_e32 v19, 31, v18
	v_lshlrev_b64 v[18:19], 3, v[18:19]
	v_add_co_u32_e64 v18, s[0:1], v5, v18
	v_addc_co_u32_e64 v19, s[0:1], v6, v19, s[0:1]
	global_load_dwordx2 v[20:21], v[18:19], off
	s_waitcnt lgkmcnt(0)
	v_mul_f32_e32 v11, s17, v10
	v_mul_f32_e32 v12, s17, v9
	v_fma_f32 v9, s16, v9, -v11
	v_fmac_f32_e32 v12, s16, v10
	s_waitcnt vmcnt(0)
	v_mul_f32_e32 v10, s15, v21
	v_mul_f32_e32 v11, s14, v21
	v_fma_f32 v10, s14, v20, -v10
	v_fmac_f32_e32 v11, s15, v20
	v_add_f32_e32 v10, v9, v10
	v_add_f32_e32 v11, v12, v11
	global_store_dwordx2 v[18:19], v[10:11], off
.LBB4_31:
	s_or_b64 exec, exec, s[4:5]
	s_waitcnt lgkmcnt(1)
	ds_bpermute_b32 v9, v8, v13
	s_waitcnt lgkmcnt(1)
	ds_bpermute_b32 v10, v8, v15
	v_or_b32_e32 v11, 1, v7
	v_cmp_lt_i32_e64 s[0:1], v11, v16
	s_and_b64 s[0:1], vcc, s[0:1]
	s_and_saveexec_b64 s[4:5], s[0:1]
	s_cbranch_execz .LBB4_33
; %bb.32:
	v_mad_u64_u32 v[12:13], s[0:1], v11, s2, v[4:5]
	v_ashrrev_i32_e32 v13, 31, v12
	v_lshlrev_b64 v[12:13], 3, v[12:13]
	v_add_co_u32_e64 v12, s[0:1], v5, v12
	v_addc_co_u32_e64 v13, s[0:1], v6, v13, s[0:1]
	global_load_dwordx2 v[14:15], v[12:13], off
	s_waitcnt lgkmcnt(0)
	v_mul_f32_e32 v11, s17, v10
	v_mul_f32_e32 v17, s16, v10
	v_fma_f32 v10, s16, v9, -v11
	v_fmac_f32_e32 v17, s17, v9
	s_waitcnt vmcnt(0)
	v_mul_f32_e32 v9, s15, v15
	v_mul_f32_e32 v11, s14, v15
	v_fma_f32 v9, s14, v14, -v9
	v_fmac_f32_e32 v11, s15, v14
	v_add_f32_e32 v10, v10, v9
	v_add_f32_e32 v11, v17, v11
	global_store_dwordx2 v[12:13], v[10:11], off
.LBB4_33:
	s_or_b64 exec, exec, s[4:5]
	ds_bpermute_b32 v0, v8, v0
	ds_bpermute_b32 v2, v8, v2
	s_waitcnt lgkmcnt(3)
	v_or_b32_e32 v9, 2, v7
	v_cmp_lt_i32_e64 s[0:1], v9, v16
	s_and_b64 s[0:1], vcc, s[0:1]
	s_and_saveexec_b64 s[4:5], s[0:1]
	s_cbranch_execz .LBB4_35
; %bb.34:
	s_waitcnt lgkmcnt(2)
	v_mad_u64_u32 v[10:11], s[0:1], v9, s2, v[4:5]
	v_ashrrev_i32_e32 v11, 31, v10
	v_lshlrev_b64 v[10:11], 3, v[10:11]
	v_add_co_u32_e64 v10, s[0:1], v5, v10
	v_addc_co_u32_e64 v11, s[0:1], v6, v11, s[0:1]
	global_load_dwordx2 v[12:13], v[10:11], off
	s_waitcnt lgkmcnt(0)
	v_mul_f32_e32 v9, s17, v2
	v_mul_f32_e32 v2, s16, v2
	v_fma_f32 v9, s16, v0, -v9
	v_fmac_f32_e32 v2, s17, v0
	s_waitcnt vmcnt(0)
	v_mul_f32_e32 v0, s15, v13
	v_mul_f32_e32 v13, s14, v13
	v_fma_f32 v0, s14, v12, -v0
	v_fmac_f32_e32 v13, s15, v12
	v_add_f32_e32 v12, v9, v0
	v_add_f32_e32 v13, v2, v13
	global_store_dwordx2 v[10:11], v[12:13], off
.LBB4_35:
	s_or_b64 exec, exec, s[4:5]
	s_waitcnt lgkmcnt(1)
	ds_bpermute_b32 v0, v8, v1
	ds_bpermute_b32 v1, v8, v3
	s_waitcnt lgkmcnt(2)
	v_or_b32_e32 v2, 3, v7
	v_cmp_lt_i32_e64 s[0:1], v2, v16
	s_and_b64 s[0:1], vcc, s[0:1]
	s_and_b64 exec, exec, s[0:1]
	s_cbranch_execz .LBB4_37
; %bb.36:
	v_mad_u64_u32 v[2:3], s[0:1], v2, s2, v[4:5]
	v_ashrrev_i32_e32 v3, 31, v2
	v_lshlrev_b64 v[2:3], 3, v[2:3]
	v_add_co_u32_e32 v2, vcc, v5, v2
	v_addc_co_u32_e32 v3, vcc, v6, v3, vcc
	global_load_dwordx2 v[4:5], v[2:3], off
	s_waitcnt lgkmcnt(0)
	v_mul_f32_e32 v6, s17, v1
	v_mul_f32_e32 v1, s16, v1
	v_fma_f32 v6, s16, v0, -v6
	v_fmac_f32_e32 v1, s17, v0
	s_waitcnt vmcnt(0)
	v_mul_f32_e32 v0, s15, v5
	v_mul_f32_e32 v5, s14, v5
	v_fma_f32 v0, s14, v4, -v0
	v_fmac_f32_e32 v5, s15, v4
	v_add_f32_e32 v0, v6, v0
	v_add_f32_e32 v1, v1, v5
	global_store_dwordx2 v[2:3], v[0:1], off
.LBB4_37:
	s_endpgm
	.section	.rodata,"a",@progbits
	.p2align	6, 0x0
	.amdhsa_kernel _ZN9rocsolver6v33100L16mfma_gemm_kernelI19rocblas_complex_numIfEiPKS3_PKPS3_S8_S8_EEv18rocblas_operation_S9_T0_SA_SA_T1_T2_lSA_SA_lT3_lSA_SA_lSB_T4_lSA_SA_l
		.amdhsa_group_segment_fixed_size 20480
		.amdhsa_private_segment_fixed_size 0
		.amdhsa_kernarg_size 392
		.amdhsa_user_sgpr_count 8
		.amdhsa_user_sgpr_private_segment_buffer 1
		.amdhsa_user_sgpr_dispatch_ptr 1
		.amdhsa_user_sgpr_queue_ptr 0
		.amdhsa_user_sgpr_kernarg_segment_ptr 1
		.amdhsa_user_sgpr_dispatch_id 0
		.amdhsa_user_sgpr_flat_scratch_init 0
		.amdhsa_user_sgpr_kernarg_preload_length 0
		.amdhsa_user_sgpr_kernarg_preload_offset 0
		.amdhsa_user_sgpr_private_segment_size 0
		.amdhsa_uses_dynamic_stack 0
		.amdhsa_system_sgpr_private_segment_wavefront_offset 0
		.amdhsa_system_sgpr_workgroup_id_x 1
		.amdhsa_system_sgpr_workgroup_id_y 1
		.amdhsa_system_sgpr_workgroup_id_z 1
		.amdhsa_system_sgpr_workgroup_info 0
		.amdhsa_system_vgpr_workitem_id 2
		.amdhsa_next_free_vgpr 50
		.amdhsa_next_free_sgpr 37
		.amdhsa_accum_offset 52
		.amdhsa_reserve_vcc 1
		.amdhsa_reserve_flat_scratch 0
		.amdhsa_float_round_mode_32 0
		.amdhsa_float_round_mode_16_64 0
		.amdhsa_float_denorm_mode_32 3
		.amdhsa_float_denorm_mode_16_64 3
		.amdhsa_dx10_clamp 1
		.amdhsa_ieee_mode 1
		.amdhsa_fp16_overflow 0
		.amdhsa_tg_split 0
		.amdhsa_exception_fp_ieee_invalid_op 0
		.amdhsa_exception_fp_denorm_src 0
		.amdhsa_exception_fp_ieee_div_zero 0
		.amdhsa_exception_fp_ieee_overflow 0
		.amdhsa_exception_fp_ieee_underflow 0
		.amdhsa_exception_fp_ieee_inexact 0
		.amdhsa_exception_int_div_zero 0
	.end_amdhsa_kernel
	.section	.text._ZN9rocsolver6v33100L16mfma_gemm_kernelI19rocblas_complex_numIfEiPKS3_PKPS3_S8_S8_EEv18rocblas_operation_S9_T0_SA_SA_T1_T2_lSA_SA_lT3_lSA_SA_lSB_T4_lSA_SA_l,"axG",@progbits,_ZN9rocsolver6v33100L16mfma_gemm_kernelI19rocblas_complex_numIfEiPKS3_PKPS3_S8_S8_EEv18rocblas_operation_S9_T0_SA_SA_T1_T2_lSA_SA_lT3_lSA_SA_lSB_T4_lSA_SA_l,comdat
.Lfunc_end4:
	.size	_ZN9rocsolver6v33100L16mfma_gemm_kernelI19rocblas_complex_numIfEiPKS3_PKPS3_S8_S8_EEv18rocblas_operation_S9_T0_SA_SA_T1_T2_lSA_SA_lT3_lSA_SA_lSB_T4_lSA_SA_l, .Lfunc_end4-_ZN9rocsolver6v33100L16mfma_gemm_kernelI19rocblas_complex_numIfEiPKS3_PKPS3_S8_S8_EEv18rocblas_operation_S9_T0_SA_SA_T1_T2_lSA_SA_lT3_lSA_SA_lSB_T4_lSA_SA_l
                                        ; -- End function
	.section	.AMDGPU.csdata,"",@progbits
; Kernel info:
; codeLenInByte = 2128
; NumSgprs: 41
; NumVgprs: 50
; NumAgprs: 0
; TotalNumVgprs: 50
; ScratchSize: 0
; MemoryBound: 0
; FloatMode: 240
; IeeeMode: 1
; LDSByteSize: 20480 bytes/workgroup (compile time only)
; SGPRBlocks: 5
; VGPRBlocks: 6
; NumSGPRsForWavesPerEU: 41
; NumVGPRsForWavesPerEU: 50
; AccumOffset: 52
; Occupancy: 8
; WaveLimiterHint : 1
; COMPUTE_PGM_RSRC2:SCRATCH_EN: 0
; COMPUTE_PGM_RSRC2:USER_SGPR: 8
; COMPUTE_PGM_RSRC2:TRAP_HANDLER: 0
; COMPUTE_PGM_RSRC2:TGID_X_EN: 1
; COMPUTE_PGM_RSRC2:TGID_Y_EN: 1
; COMPUTE_PGM_RSRC2:TGID_Z_EN: 1
; COMPUTE_PGM_RSRC2:TIDIG_COMP_CNT: 2
; COMPUTE_PGM_RSRC3_GFX90A:ACCUM_OFFSET: 12
; COMPUTE_PGM_RSRC3_GFX90A:TG_SPLIT: 0
	.section	.text._ZN9rocsolver6v33100L16mfma_gemm_kernelI19rocblas_complex_numIfEiS3_PKPS3_S6_S6_EEv18rocblas_operation_S7_T0_S8_S8_T1_T2_lS8_S8_lT3_lS8_S8_lS9_T4_lS8_S8_l,"axG",@progbits,_ZN9rocsolver6v33100L16mfma_gemm_kernelI19rocblas_complex_numIfEiS3_PKPS3_S6_S6_EEv18rocblas_operation_S7_T0_S8_S8_T1_T2_lS8_S8_lT3_lS8_S8_lS9_T4_lS8_S8_l,comdat
	.globl	_ZN9rocsolver6v33100L16mfma_gemm_kernelI19rocblas_complex_numIfEiS3_PKPS3_S6_S6_EEv18rocblas_operation_S7_T0_S8_S8_T1_T2_lS8_S8_lT3_lS8_S8_lS9_T4_lS8_S8_l ; -- Begin function _ZN9rocsolver6v33100L16mfma_gemm_kernelI19rocblas_complex_numIfEiS3_PKPS3_S6_S6_EEv18rocblas_operation_S7_T0_S8_S8_T1_T2_lS8_S8_lT3_lS8_S8_lS9_T4_lS8_S8_l
	.p2align	8
	.type	_ZN9rocsolver6v33100L16mfma_gemm_kernelI19rocblas_complex_numIfEiS3_PKPS3_S6_S6_EEv18rocblas_operation_S7_T0_S8_S8_T1_T2_lS8_S8_lT3_lS8_S8_lS9_T4_lS8_S8_l,@function
_ZN9rocsolver6v33100L16mfma_gemm_kernelI19rocblas_complex_numIfEiS3_PKPS3_S6_S6_EEv18rocblas_operation_S7_T0_S8_S8_T1_T2_lS8_S8_lT3_lS8_S8_lS9_T4_lS8_S8_l: ; @_ZN9rocsolver6v33100L16mfma_gemm_kernelI19rocblas_complex_numIfEiS3_PKPS3_S6_S6_EEv18rocblas_operation_S7_T0_S8_S8_T1_T2_lS8_S8_lT3_lS8_S8_lS9_T4_lS8_S8_l
; %bb.0:
	s_load_dword s0, s[6:7], 0x94
	s_load_dwordx4 s[20:23], s[6:7], 0x0
	v_and_b32_e32 v17, 0x3ff, v0
	v_bfe_u32 v1, v0, 10, 10
	v_lshrrev_b32_e32 v2, 6, v17
	s_waitcnt lgkmcnt(0)
	s_lshr_b32 s1, s0, 16
	s_bfe_u32 s0, s0, 0xa0006
	s_mul_i32 s8, s8, s0
	s_mul_i32 s9, s9, s1
	v_add_lshl_u32 v18, s8, v2, 4
	v_add_u32_e32 v2, s9, v1
	v_lshlrev_b32_e32 v19, 4, v2
	v_cmp_gt_i32_e32 vcc, s22, v18
	v_cmp_gt_i32_e64 s[0:1], s23, v19
	s_and_b64 s[0:1], vcc, s[0:1]
	s_and_saveexec_b64 s[2:3], s[0:1]
	s_cbranch_execz .LBB5_37
; %bb.1:
	s_load_dwordx2 s[0:1], s[4:5], 0x4
	s_load_dwordx4 s[12:15], s[6:7], 0x10
	s_load_dwordx2 s[24:25], s[6:7], 0x60
	s_load_dwordx4 s[16:19], s[6:7], 0x68
	v_bfe_u32 v0, v0, 20, 10
	s_waitcnt lgkmcnt(0)
	s_lshr_b32 s0, s0, 16
	s_mul_i32 s0, s0, s1
	v_mul_lo_u32 v2, s0, v17
	s_ashr_i32 s0, s22, 31
	s_lshr_b32 s0, s0, 28
	s_add_i32 s0, s22, s0
	s_and_b32 s0, s0, -16
	v_mul_u32_u24_e32 v1, s1, v1
	s_sub_i32 s0, s22, s0
	v_add3_u32 v0, v2, v1, v0
	v_mov_b32_e32 v1, s0
	s_ashr_i32 s0, s23, 31
	s_lshr_b32 s0, s0, 28
	s_add_i32 s0, s23, s0
	v_mul_lo_u32 v24, v0, 20
	v_add_u32_e32 v0, 16, v18
	s_and_b32 s0, s0, -16
	s_ashr_i32 s11, s10, 31
	v_cmp_lt_i32_e32 vcc, s22, v0
	s_sub_i32 s0, s23, s0
	s_lshl_b64 s[2:3], s[10:11], 3
	v_cndmask_b32_e32 v16, 16, v1, vcc
	v_mov_b32_e32 v1, s0
	s_add_u32 s0, s16, s2
	s_addc_u32 s1, s17, s3
	s_load_dwordx2 s[10:11], s[0:1], 0x0
	v_add_u32_e32 v0, 16, v19
	v_cmp_lt_i32_e32 vcc, s23, v0
	v_cndmask_b32_e32 v20, 16, v1, vcc
	v_bfe_u32 v21, v17, 2, 4
	v_and_b32_e32 v22, 3, v17
	s_cmp_lt_i32 s12, 1
	v_mov_b32_e32 v1, 0
	s_mov_b32 s15, 0
	v_cmp_lt_i32_e64 s[0:1], v21, v20
	v_mbcnt_lo_u32_b32 v23, -1, 0
	v_mov_b32_e32 v2, 0
	v_mov_b32_e32 v13, 0
	;; [unrolled: 1-line block ×7, first 2 shown]
	ds_write2_b32 v24, v1, v1 offset0:2 offset1:3
	ds_write2_b32 v24, v1, v1 offset1:1
	ds_write_b32 v24, v1 offset:16
	s_cbranch_scc1 .LBB5_29
; %bb.2:
	s_load_dwordx4 s[28:31], s[6:7], 0x20
	s_load_dwordx2 s[34:35], s[6:7], 0x30
	v_and_b32_e32 v2, 63, v17
	v_lshrrev_b32_e32 v29, 4, v2
	s_waitcnt lgkmcnt(0)
	s_add_u32 s4, s28, s2
	s_addc_u32 s5, s29, s3
	s_load_dwordx2 s[8:9], s[4:5], 0x0
	s_load_dwordx4 s[36:39], s[6:7], 0x40
	s_load_dwordx2 s[28:29], s[6:7], 0x50
	s_lshl_b64 s[4:5], s[30:31], 3
	s_waitcnt lgkmcnt(0)
	s_add_u32 s8, s8, s4
	s_addc_u32 s4, s9, s5
	s_add_u32 s2, s36, s2
	s_addc_u32 s3, s37, s3
	s_load_dwordx2 s[2:3], s[2:3], 0x0
	v_mov_b32_e32 v3, s4
	s_lshl_b64 s[4:5], s[38:39], 3
	s_waitcnt lgkmcnt(0)
	s_add_u32 s2, s2, s4
	s_addc_u32 s3, s3, s5
	s_cmpk_lg_i32 s20, 0x6f
	s_cselect_b64 s[16:17], -1, 0
	s_cmpk_eq_i32 s20, 0x6f
	s_cselect_b32 s4, s34, s35
	s_cmpk_lg_i32 s21, 0x6f
	v_mul_lo_u32 v0, v18, s4
	v_ashrrev_i32_e32 v1, 31, v0
	s_cselect_b64 s[22:23], -1, 0
	s_cmpk_eq_i32 s21, 0x6f
	v_lshlrev_b64 v[0:1], 3, v[0:1]
	s_cselect_b32 s4, s29, s28
	v_add_co_u32_e32 v25, vcc, s8, v0
	v_mul_lo_u32 v0, v19, s4
	v_addc_co_u32_e32 v26, vcc, v3, v1, vcc
	v_ashrrev_i32_e32 v1, 31, v0
	v_lshlrev_b64 v[0:1], 3, v[0:1]
	v_mov_b32_e32 v3, s3
	v_add_co_u32_e32 v27, vcc, s2, v0
	v_addc_co_u32_e32 v28, vcc, v3, v1, vcc
	v_and_b32_e32 v1, 15, v17
	v_mul_lo_u32 v0, v1, s34
	v_mad_u64_u32 v[4:5], s[30:31], s35, v29, v[0:1]
	v_mul_lo_u32 v0, s34, v22
	v_mad_u64_u32 v[6:7], s[30:31], v21, s35, v[0:1]
	v_mul_lo_u32 v0, s28, v22
	v_lshl_or_b32 v3, v1, 2, v29
	v_cmp_lt_i32_e64 s[4:5], v1, v16
	v_cmp_lt_i32_e64 s[8:9], v1, v20
	v_mul_lo_u32 v2, v1, s28
	s_cmpk_eq_i32 s20, 0x71
	v_mad_u64_u32 v[8:9], s[30:31], v21, s29, v[0:1]
	v_mbcnt_hi_u32_b32 v1, -1, v23
	s_cselect_b64 s[26:27], -1, 0
	s_cmpk_eq_i32 s21, 0x71
	v_mov_b32_e32 v0, 0
	v_and_or_b32 v1, v1, 64, v3
	v_cmp_lt_i32_e64 s[2:3], v21, v16
	s_cselect_b64 s[20:21], -1, 0
	s_lshl_b32 s33, s35, 2
	s_lshl_b32 s34, s34, 2
	;; [unrolled: 1-line block ×3, first 2 shown]
	v_mad_u64_u32 v[10:11], s[30:31], s29, v29, v[2:3]
	s_lshl_b32 s36, s29, 2
	v_lshlrev_b32_e32 v30, 2, v1
	v_mov_b32_e32 v3, v0
	v_mov_b32_e32 v2, v0
	;; [unrolled: 1-line block ×3, first 2 shown]
	s_branch .LBB5_6
.LBB5_3:                                ;   in Loop: Header=BB5_6 Depth=1
	s_or_b64 exec, exec, s[30:31]
.LBB5_4:                                ;   in Loop: Header=BB5_6 Depth=1
	s_or_b64 exec, exec, s[28:29]
	s_waitcnt vmcnt(0)
	ds_bpermute_b32 v14, v30, v14
	ds_bpermute_b32 v15, v30, v15
.LBB5_5:                                ;   in Loop: Header=BB5_6 Depth=1
	s_waitcnt vmcnt(0) lgkmcnt(0)
	v_cndmask_b32_e64 v7, v13, -v13, s[26:27]
	v_cndmask_b32_e64 v5, v15, -v15, s[20:21]
	v_mfma_f32_16x16x4f32 v[32:35], v12, v14, 0
	s_add_i32 s15, s15, 4
	v_add_u32_e32 v4, s33, v4
	v_add_u32_e32 v6, s34, v6
	;; [unrolled: 1-line block ×3, first 2 shown]
	s_cmp_ge_i32 s15, s12
	v_add_u32_e32 v10, s36, v10
	v_mfma_f32_16x16x4f32 v[40:43], v7, v5, 0
	v_mfma_f32_16x16x4f32 v[36:39], v12, v5, 0
	ds_read2_b32 v[12:13], v24 offset1:1
	ds_read2_b32 v[44:45], v24 offset0:3 offset1:4
	ds_read2_b32 v[46:47], v24 offset0:2 offset1:3
	;; [unrolled: 1-line block ×3, first 2 shown]
	s_nop 5
	v_sub_f32_e32 v35, v35, v43
	v_sub_f32_e32 v34, v34, v42
	;; [unrolled: 1-line block ×4, first 2 shown]
	s_waitcnt lgkmcnt(1)
	v_mov_b32_e32 v13, v46
	v_pk_add_f32 v[12:13], v[12:13], v[32:33]
	v_pk_add_f32 v[0:1], v[0:1], v[34:35]
	v_mfma_f32_16x16x4f32 v[32:35], v7, v14, 0
	s_waitcnt lgkmcnt(0)
	v_mov_b32_e32 v49, v44
	s_nop 7
	s_nop 0
	v_pk_add_f32 v[14:15], v[38:39], v[34:35]
	v_pk_add_f32 v[32:33], v[36:37], v[32:33]
	;; [unrolled: 1-line block ×4, first 2 shown]
	ds_write2_b32 v24, v12, v14 offset1:1
	v_mov_b32_e32 v12, v13
	v_mov_b32_e32 v5, v15
	ds_write2_b32 v24, v13, v15 offset0:2 offset1:3
	ds_write_b32 v24, v0 offset:16
	s_cbranch_scc1 .LBB5_28
.LBB5_6:                                ; =>This Inner Loop Header: Depth=1
	s_and_b64 vcc, exec, s[16:17]
	s_cbranch_vccz .LBB5_18
; %bb.7:                                ;   in Loop: Header=BB5_6 Depth=1
	v_mov_b32_e32 v12, 0
	v_mov_b32_e32 v13, 0
	s_and_saveexec_b64 s[28:29], s[2:3]
	s_cbranch_execz .LBB5_11
; %bb.8:                                ;   in Loop: Header=BB5_6 Depth=1
	v_add_u32_e32 v5, s15, v22
	v_cmp_gt_i32_e32 vcc, s12, v5
	v_mov_b32_e32 v13, 0
	v_mov_b32_e32 v12, 0
	s_and_saveexec_b64 s[30:31], vcc
	s_cbranch_execz .LBB5_10
; %bb.9:                                ;   in Loop: Header=BB5_6 Depth=1
	v_ashrrev_i32_e32 v7, 31, v6
	v_lshlrev_b64 v[12:13], 3, v[6:7]
	v_add_co_u32_e32 v12, vcc, v25, v12
	v_addc_co_u32_e32 v13, vcc, v26, v13, vcc
	global_load_dwordx2 v[12:13], v[12:13], off
.LBB5_10:                               ;   in Loop: Header=BB5_6 Depth=1
	s_or_b64 exec, exec, s[30:31]
.LBB5_11:                               ;   in Loop: Header=BB5_6 Depth=1
	s_or_b64 exec, exec, s[28:29]
	s_waitcnt vmcnt(0)
	ds_bpermute_b32 v12, v30, v12
	ds_bpermute_b32 v13, v30, v13
.LBB5_12:                               ;   in Loop: Header=BB5_6 Depth=1
	s_and_b64 vcc, exec, s[22:23]
	s_cbranch_vccz .LBB5_24
.LBB5_13:                               ;   in Loop: Header=BB5_6 Depth=1
	v_mov_b32_e32 v15, 0
	v_mov_b32_e32 v14, 0
	s_and_saveexec_b64 s[28:29], s[8:9]
	s_cbranch_execz .LBB5_17
; %bb.14:                               ;   in Loop: Header=BB5_6 Depth=1
	v_add_u32_e32 v5, s15, v29
	v_cmp_gt_i32_e32 vcc, s12, v5
	v_mov_b32_e32 v15, 0
	v_mov_b32_e32 v14, 0
	s_and_saveexec_b64 s[30:31], vcc
	s_cbranch_execz .LBB5_16
; %bb.15:                               ;   in Loop: Header=BB5_6 Depth=1
	v_ashrrev_i32_e32 v11, 31, v10
	v_lshlrev_b64 v[14:15], 3, v[10:11]
	v_add_co_u32_e32 v14, vcc, v27, v14
	v_addc_co_u32_e32 v15, vcc, v28, v15, vcc
	global_load_dwordx2 v[14:15], v[14:15], off
.LBB5_16:                               ;   in Loop: Header=BB5_6 Depth=1
	s_or_b64 exec, exec, s[30:31]
.LBB5_17:                               ;   in Loop: Header=BB5_6 Depth=1
	s_or_b64 exec, exec, s[28:29]
	s_cbranch_execnz .LBB5_5
	s_branch .LBB5_25
.LBB5_18:                               ;   in Loop: Header=BB5_6 Depth=1
                                        ; implicit-def: $vgpr13
	s_cbranch_execz .LBB5_12
; %bb.19:                               ;   in Loop: Header=BB5_6 Depth=1
	s_waitcnt lgkmcnt(0)
	v_mov_b32_e32 v13, 0
	v_mov_b32_e32 v12, 0
	s_and_saveexec_b64 s[28:29], s[4:5]
	s_cbranch_execz .LBB5_23
; %bb.20:                               ;   in Loop: Header=BB5_6 Depth=1
	v_add_u32_e32 v5, s15, v29
	v_cmp_gt_i32_e32 vcc, s12, v5
	v_mov_b32_e32 v13, 0
	v_mov_b32_e32 v12, 0
	s_and_saveexec_b64 s[30:31], vcc
	s_cbranch_execz .LBB5_22
; %bb.21:                               ;   in Loop: Header=BB5_6 Depth=1
	v_ashrrev_i32_e32 v5, 31, v4
	v_lshlrev_b64 v[12:13], 3, v[4:5]
	v_add_co_u32_e32 v12, vcc, v25, v12
	v_addc_co_u32_e32 v13, vcc, v26, v13, vcc
	global_load_dwordx2 v[12:13], v[12:13], off
.LBB5_22:                               ;   in Loop: Header=BB5_6 Depth=1
	s_or_b64 exec, exec, s[30:31]
.LBB5_23:                               ;   in Loop: Header=BB5_6 Depth=1
	s_or_b64 exec, exec, s[28:29]
	s_and_b64 vcc, exec, s[22:23]
	s_cbranch_vccnz .LBB5_13
.LBB5_24:                               ;   in Loop: Header=BB5_6 Depth=1
                                        ; implicit-def: $vgpr15
.LBB5_25:                               ;   in Loop: Header=BB5_6 Depth=1
	s_waitcnt vmcnt(0)
	v_mov_b32_e32 v14, 0
	v_mov_b32_e32 v15, 0
	s_and_saveexec_b64 s[28:29], s[0:1]
	s_cbranch_execz .LBB5_4
; %bb.26:                               ;   in Loop: Header=BB5_6 Depth=1
	v_add_u32_e32 v5, s15, v22
	v_cmp_gt_i32_e32 vcc, s12, v5
	v_mov_b32_e32 v15, 0
	v_mov_b32_e32 v14, 0
	s_and_saveexec_b64 s[30:31], vcc
	s_cbranch_execz .LBB5_3
; %bb.27:                               ;   in Loop: Header=BB5_6 Depth=1
	v_ashrrev_i32_e32 v9, 31, v8
	v_lshlrev_b64 v[14:15], 3, v[8:9]
	v_add_co_u32_e32 v14, vcc, v27, v14
	v_addc_co_u32_e32 v15, vcc, v28, v15, vcc
	global_load_dwordx2 v[14:15], v[14:15], off
	s_branch .LBB5_3
.LBB5_28:
	ds_read_b32 v4, v24
.LBB5_29:
	s_load_dwordx2 s[2:3], s[6:7], 0x78
	s_lshl_b64 s[0:1], s[18:19], 3
	s_waitcnt lgkmcnt(0)
	s_add_u32 s4, s10, s0
	s_addc_u32 s5, s11, s1
	v_mov_b32_e32 v8, s5
	v_mul_lo_u32 v6, v18, s2
	v_mad_u64_u32 v[6:7], s[0:1], v19, s3, v[6:7]
	v_ashrrev_i32_e32 v7, 31, v6
	v_lshlrev_b64 v[6:7], 3, v[6:7]
	v_add_co_u32_e32 v5, vcc, s4, v6
	v_addc_co_u32_e32 v6, vcc, v8, v7, vcc
	v_lshlrev_b32_e32 v8, 4, v17
	v_mbcnt_hi_u32_b32 v9, -1, v23
	v_and_b32_e32 v8, 48, v8
	v_and_b32_e32 v9, 64, v9
	v_or3_b32 v8, v8, v9, v21
	v_lshlrev_b32_e32 v8, 2, v8
	ds_bpermute_b32 v9, v8, v4
	ds_bpermute_b32 v10, v8, v14
	v_lshlrev_b32_e32 v7, 2, v22
	v_cmp_lt_i32_e32 vcc, v21, v20
	v_cmp_lt_i32_e64 s[0:1], v7, v16
	v_mul_lo_u32 v4, v21, s3
	s_and_b64 s[0:1], vcc, s[0:1]
	s_and_saveexec_b64 s[4:5], s[0:1]
	s_cbranch_execz .LBB5_31
; %bb.30:
	v_mad_u64_u32 v[18:19], s[0:1], v7, s2, v[4:5]
	v_ashrrev_i32_e32 v19, 31, v18
	v_lshlrev_b64 v[18:19], 3, v[18:19]
	v_add_co_u32_e64 v18, s[0:1], v5, v18
	v_addc_co_u32_e64 v19, s[0:1], v6, v19, s[0:1]
	global_load_dwordx2 v[20:21], v[18:19], off
	s_waitcnt lgkmcnt(0)
	v_mul_f32_e32 v11, s14, v10
	v_mul_f32_e32 v12, s14, v9
	v_fma_f32 v9, s13, v9, -v11
	v_fmac_f32_e32 v12, s13, v10
	s_waitcnt vmcnt(0)
	v_mul_f32_e32 v10, s25, v21
	v_mul_f32_e32 v11, s24, v21
	v_fma_f32 v10, s24, v20, -v10
	v_fmac_f32_e32 v11, s25, v20
	v_add_f32_e32 v10, v9, v10
	v_add_f32_e32 v11, v12, v11
	global_store_dwordx2 v[18:19], v[10:11], off
.LBB5_31:
	s_or_b64 exec, exec, s[4:5]
	s_waitcnt lgkmcnt(1)
	ds_bpermute_b32 v9, v8, v13
	s_waitcnt lgkmcnt(1)
	ds_bpermute_b32 v10, v8, v15
	v_or_b32_e32 v11, 1, v7
	v_cmp_lt_i32_e64 s[0:1], v11, v16
	s_and_b64 s[0:1], vcc, s[0:1]
	s_and_saveexec_b64 s[4:5], s[0:1]
	s_cbranch_execz .LBB5_33
; %bb.32:
	v_mad_u64_u32 v[12:13], s[0:1], v11, s2, v[4:5]
	v_ashrrev_i32_e32 v13, 31, v12
	v_lshlrev_b64 v[12:13], 3, v[12:13]
	v_add_co_u32_e64 v12, s[0:1], v5, v12
	v_addc_co_u32_e64 v13, s[0:1], v6, v13, s[0:1]
	global_load_dwordx2 v[14:15], v[12:13], off
	s_waitcnt lgkmcnt(0)
	v_mul_f32_e32 v11, s14, v10
	v_mul_f32_e32 v17, s13, v10
	v_fma_f32 v10, s13, v9, -v11
	v_fmac_f32_e32 v17, s14, v9
	s_waitcnt vmcnt(0)
	v_mul_f32_e32 v9, s25, v15
	v_mul_f32_e32 v11, s24, v15
	v_fma_f32 v9, s24, v14, -v9
	v_fmac_f32_e32 v11, s25, v14
	v_add_f32_e32 v10, v10, v9
	v_add_f32_e32 v11, v17, v11
	global_store_dwordx2 v[12:13], v[10:11], off
.LBB5_33:
	s_or_b64 exec, exec, s[4:5]
	ds_bpermute_b32 v0, v8, v0
	ds_bpermute_b32 v2, v8, v2
	s_waitcnt lgkmcnt(3)
	v_or_b32_e32 v9, 2, v7
	v_cmp_lt_i32_e64 s[0:1], v9, v16
	s_and_b64 s[0:1], vcc, s[0:1]
	s_and_saveexec_b64 s[4:5], s[0:1]
	s_cbranch_execz .LBB5_35
; %bb.34:
	s_waitcnt lgkmcnt(2)
	v_mad_u64_u32 v[10:11], s[0:1], v9, s2, v[4:5]
	v_ashrrev_i32_e32 v11, 31, v10
	v_lshlrev_b64 v[10:11], 3, v[10:11]
	v_add_co_u32_e64 v10, s[0:1], v5, v10
	v_addc_co_u32_e64 v11, s[0:1], v6, v11, s[0:1]
	global_load_dwordx2 v[12:13], v[10:11], off
	s_waitcnt lgkmcnt(0)
	v_mul_f32_e32 v9, s14, v2
	v_mul_f32_e32 v2, s13, v2
	v_fma_f32 v9, s13, v0, -v9
	v_fmac_f32_e32 v2, s14, v0
	s_waitcnt vmcnt(0)
	v_mul_f32_e32 v0, s25, v13
	v_mul_f32_e32 v13, s24, v13
	v_fma_f32 v0, s24, v12, -v0
	v_fmac_f32_e32 v13, s25, v12
	v_add_f32_e32 v12, v9, v0
	v_add_f32_e32 v13, v2, v13
	global_store_dwordx2 v[10:11], v[12:13], off
.LBB5_35:
	s_or_b64 exec, exec, s[4:5]
	s_waitcnt lgkmcnt(1)
	ds_bpermute_b32 v0, v8, v1
	ds_bpermute_b32 v1, v8, v3
	s_waitcnt lgkmcnt(2)
	v_or_b32_e32 v2, 3, v7
	v_cmp_lt_i32_e64 s[0:1], v2, v16
	s_and_b64 s[0:1], vcc, s[0:1]
	s_and_b64 exec, exec, s[0:1]
	s_cbranch_execz .LBB5_37
; %bb.36:
	v_mad_u64_u32 v[2:3], s[0:1], v2, s2, v[4:5]
	v_ashrrev_i32_e32 v3, 31, v2
	v_lshlrev_b64 v[2:3], 3, v[2:3]
	v_add_co_u32_e32 v2, vcc, v5, v2
	v_addc_co_u32_e32 v3, vcc, v6, v3, vcc
	global_load_dwordx2 v[4:5], v[2:3], off
	s_waitcnt lgkmcnt(0)
	v_mul_f32_e32 v6, s14, v1
	v_mul_f32_e32 v1, s13, v1
	v_fma_f32 v6, s13, v0, -v6
	v_fmac_f32_e32 v1, s14, v0
	s_waitcnt vmcnt(0)
	v_mul_f32_e32 v0, s25, v5
	v_mul_f32_e32 v5, s24, v5
	v_fma_f32 v0, s24, v4, -v0
	v_fmac_f32_e32 v5, s25, v4
	v_add_f32_e32 v0, v6, v0
	v_add_f32_e32 v1, v1, v5
	global_store_dwordx2 v[2:3], v[0:1], off
.LBB5_37:
	s_endpgm
	.section	.rodata,"a",@progbits
	.p2align	6, 0x0
	.amdhsa_kernel _ZN9rocsolver6v33100L16mfma_gemm_kernelI19rocblas_complex_numIfEiS3_PKPS3_S6_S6_EEv18rocblas_operation_S7_T0_S8_S8_T1_T2_lS8_S8_lT3_lS8_S8_lS9_T4_lS8_S8_l
		.amdhsa_group_segment_fixed_size 20480
		.amdhsa_private_segment_fixed_size 0
		.amdhsa_kernarg_size 392
		.amdhsa_user_sgpr_count 8
		.amdhsa_user_sgpr_private_segment_buffer 1
		.amdhsa_user_sgpr_dispatch_ptr 1
		.amdhsa_user_sgpr_queue_ptr 0
		.amdhsa_user_sgpr_kernarg_segment_ptr 1
		.amdhsa_user_sgpr_dispatch_id 0
		.amdhsa_user_sgpr_flat_scratch_init 0
		.amdhsa_user_sgpr_kernarg_preload_length 0
		.amdhsa_user_sgpr_kernarg_preload_offset 0
		.amdhsa_user_sgpr_private_segment_size 0
		.amdhsa_uses_dynamic_stack 0
		.amdhsa_system_sgpr_private_segment_wavefront_offset 0
		.amdhsa_system_sgpr_workgroup_id_x 1
		.amdhsa_system_sgpr_workgroup_id_y 1
		.amdhsa_system_sgpr_workgroup_id_z 1
		.amdhsa_system_sgpr_workgroup_info 0
		.amdhsa_system_vgpr_workitem_id 2
		.amdhsa_next_free_vgpr 50
		.amdhsa_next_free_sgpr 40
		.amdhsa_accum_offset 52
		.amdhsa_reserve_vcc 1
		.amdhsa_reserve_flat_scratch 0
		.amdhsa_float_round_mode_32 0
		.amdhsa_float_round_mode_16_64 0
		.amdhsa_float_denorm_mode_32 3
		.amdhsa_float_denorm_mode_16_64 3
		.amdhsa_dx10_clamp 1
		.amdhsa_ieee_mode 1
		.amdhsa_fp16_overflow 0
		.amdhsa_tg_split 0
		.amdhsa_exception_fp_ieee_invalid_op 0
		.amdhsa_exception_fp_denorm_src 0
		.amdhsa_exception_fp_ieee_div_zero 0
		.amdhsa_exception_fp_ieee_overflow 0
		.amdhsa_exception_fp_ieee_underflow 0
		.amdhsa_exception_fp_ieee_inexact 0
		.amdhsa_exception_int_div_zero 0
	.end_amdhsa_kernel
	.section	.text._ZN9rocsolver6v33100L16mfma_gemm_kernelI19rocblas_complex_numIfEiS3_PKPS3_S6_S6_EEv18rocblas_operation_S7_T0_S8_S8_T1_T2_lS8_S8_lT3_lS8_S8_lS9_T4_lS8_S8_l,"axG",@progbits,_ZN9rocsolver6v33100L16mfma_gemm_kernelI19rocblas_complex_numIfEiS3_PKPS3_S6_S6_EEv18rocblas_operation_S7_T0_S8_S8_T1_T2_lS8_S8_lT3_lS8_S8_lS9_T4_lS8_S8_l,comdat
.Lfunc_end5:
	.size	_ZN9rocsolver6v33100L16mfma_gemm_kernelI19rocblas_complex_numIfEiS3_PKPS3_S6_S6_EEv18rocblas_operation_S7_T0_S8_S8_T1_T2_lS8_S8_lT3_lS8_S8_lS9_T4_lS8_S8_l, .Lfunc_end5-_ZN9rocsolver6v33100L16mfma_gemm_kernelI19rocblas_complex_numIfEiS3_PKPS3_S6_S6_EEv18rocblas_operation_S7_T0_S8_S8_T1_T2_lS8_S8_lT3_lS8_S8_lS9_T4_lS8_S8_l
                                        ; -- End function
	.section	.AMDGPU.csdata,"",@progbits
; Kernel info:
; codeLenInByte = 2116
; NumSgprs: 44
; NumVgprs: 50
; NumAgprs: 0
; TotalNumVgprs: 50
; ScratchSize: 0
; MemoryBound: 0
; FloatMode: 240
; IeeeMode: 1
; LDSByteSize: 20480 bytes/workgroup (compile time only)
; SGPRBlocks: 5
; VGPRBlocks: 6
; NumSGPRsForWavesPerEU: 44
; NumVGPRsForWavesPerEU: 50
; AccumOffset: 52
; Occupancy: 8
; WaveLimiterHint : 1
; COMPUTE_PGM_RSRC2:SCRATCH_EN: 0
; COMPUTE_PGM_RSRC2:USER_SGPR: 8
; COMPUTE_PGM_RSRC2:TRAP_HANDLER: 0
; COMPUTE_PGM_RSRC2:TGID_X_EN: 1
; COMPUTE_PGM_RSRC2:TGID_Y_EN: 1
; COMPUTE_PGM_RSRC2:TGID_Z_EN: 1
; COMPUTE_PGM_RSRC2:TIDIG_COMP_CNT: 2
; COMPUTE_PGM_RSRC3_GFX90A:ACCUM_OFFSET: 12
; COMPUTE_PGM_RSRC3_GFX90A:TG_SPLIT: 0
	.section	.text._ZN9rocsolver6v33100L11gemm_kernelI19rocblas_complex_numIfEiPKS3_PKPS3_S8_S8_EEvT0_S9_S9_T1_bT2_lS9_S9_lbT3_lS9_S9_lSA_T4_lS9_S9_l,"axG",@progbits,_ZN9rocsolver6v33100L11gemm_kernelI19rocblas_complex_numIfEiPKS3_PKPS3_S8_S8_EEvT0_S9_S9_T1_bT2_lS9_S9_lbT3_lS9_S9_lSA_T4_lS9_S9_l,comdat
	.globl	_ZN9rocsolver6v33100L11gemm_kernelI19rocblas_complex_numIfEiPKS3_PKPS3_S8_S8_EEvT0_S9_S9_T1_bT2_lS9_S9_lbT3_lS9_S9_lSA_T4_lS9_S9_l ; -- Begin function _ZN9rocsolver6v33100L11gemm_kernelI19rocblas_complex_numIfEiPKS3_PKPS3_S8_S8_EEvT0_S9_S9_T1_bT2_lS9_S9_lbT3_lS9_S9_lSA_T4_lS9_S9_l
	.p2align	8
	.type	_ZN9rocsolver6v33100L11gemm_kernelI19rocblas_complex_numIfEiPKS3_PKPS3_S8_S8_EEvT0_S9_S9_T1_bT2_lS9_S9_lbT3_lS9_S9_lSA_T4_lS9_S9_l,@function
_ZN9rocsolver6v33100L11gemm_kernelI19rocblas_complex_numIfEiPKS3_PKPS3_S8_S8_EEvT0_S9_S9_T1_bT2_lS9_S9_lbT3_lS9_S9_lSA_T4_lS9_S9_l: ; @_ZN9rocsolver6v33100L11gemm_kernelI19rocblas_complex_numIfEiPKS3_PKPS3_S8_S8_EEvT0_S9_S9_T1_bT2_lS9_S9_lbT3_lS9_S9_lSA_T4_lS9_S9_l
; %bb.0:
	s_load_dword s9, s[4:5], 0x9c
	s_load_dwordx4 s[0:3], s[4:5], 0x0
	v_and_b32_e32 v1, 0x3ff, v0
	v_bfe_u32 v0, v0, 10, 10
	s_waitcnt lgkmcnt(0)
	s_lshr_b32 s3, s9, 16
	s_and_b32 s9, s9, 0xffff
	s_mul_i32 s6, s6, s9
	s_mul_i32 s7, s7, s3
	v_add_u32_e32 v8, s6, v1
	v_add_u32_e32 v9, s7, v0
	v_cmp_gt_i32_e32 vcc, s0, v8
	v_cmp_gt_i32_e64 s[0:1], s1, v9
	s_and_b64 s[0:1], vcc, s[0:1]
	s_and_saveexec_b64 s[6:7], s[0:1]
	s_cbranch_execz .LBB6_9
; %bb.1:
	s_load_dwordx2 s[16:17], s[4:5], 0x10
	s_load_dwordx4 s[12:15], s[4:5], 0x68
	s_load_dwordx2 s[10:11], s[4:5], 0x78
	s_ashr_i32 s9, s8, 31
	v_mov_b32_e32 v10, 0
	v_mov_b32_e32 v11, 0
	s_waitcnt lgkmcnt(0)
	s_load_dwordx2 s[6:7], s[16:17], 0x0
	s_load_dwordx2 s[0:1], s[12:13], 0x0
	s_lshl_b64 s[16:17], s[8:9], 3
	s_add_u32 s8, s14, s16
	s_addc_u32 s9, s15, s17
	s_load_dwordx2 s[8:9], s[8:9], 0x0
	s_cmp_lt_i32 s2, 1
	s_cbranch_scc1 .LBB6_8
; %bb.2:
	s_load_dwordx4 s[20:23], s[4:5], 0x20
	s_load_dword s3, s[4:5], 0x18
	s_load_dwordx2 s[12:13], s[4:5], 0x30
	s_load_dword s28, s[4:5], 0x40
	s_load_dwordx4 s[24:27], s[4:5], 0x48
	s_waitcnt lgkmcnt(0)
	s_add_u32 s18, s20, s16
	s_addc_u32 s19, s21, s17
	s_load_dwordx2 s[20:21], s[18:19], 0x0
	s_load_dwordx2 s[14:15], s[4:5], 0x58
	v_mul_lo_u32 v0, v8, s12
	s_add_u32 s16, s24, s16
	s_addc_u32 s17, s25, s17
	s_bitcmp1_b32 s3, 0
	s_load_dwordx2 s[24:25], s[16:17], 0x0
	s_cselect_b64 s[16:17], -1, 0
	s_xor_b64 s[16:17], s[16:17], -1
	s_bitcmp1_b32 s28, 0
	s_cselect_b64 s[18:19], -1, 0
	s_lshl_b64 s[22:23], s[22:23], 3
	s_waitcnt lgkmcnt(0)
	s_add_u32 s3, s20, s22
	s_addc_u32 s23, s21, s23
	s_lshl_b64 s[20:21], s[26:27], 3
	s_add_u32 s22, s24, s20
	s_addc_u32 s20, s25, s21
	v_mul_lo_u32 v2, v9, s15
	v_mov_b32_e32 v10, 0
	v_mov_b32_e32 v12, s23
	;; [unrolled: 1-line block ×4, first 2 shown]
	s_branch .LBB6_4
.LBB6_3:                                ;   in Loop: Header=BB6_4 Depth=1
	v_ashrrev_i32_e32 v3, 31, v2
	v_lshlrev_b64 v[6:7], 3, v[2:3]
	v_add_co_u32_e32 v6, vcc, s22, v6
	v_addc_co_u32_e32 v7, vcc, v13, v7, vcc
	global_load_dwordx2 v[6:7], v[6:7], off
	s_add_i32 s2, s2, -1
	v_add_u32_e32 v2, s14, v2
	s_cmp_eq_u32 s2, 0
	v_add_u32_e32 v0, s13, v0
	s_waitcnt vmcnt(0)
	v_cndmask_b32_e64 v1, v7, -v7, s[18:19]
	v_mul_f32_e32 v3, v6, v5
	v_mul_f32_e32 v5, v1, v5
	v_fmac_f32_e32 v3, v1, v4
	v_fma_f32 v1, v6, v4, -v5
	v_add_f32_e32 v10, v10, v3
	v_add_f32_e32 v11, v11, v1
	s_cbranch_scc1 .LBB6_8
.LBB6_4:                                ; =>This Inner Loop Header: Depth=1
	v_ashrrev_i32_e32 v1, 31, v0
	v_lshlrev_b64 v[4:5], 3, v[0:1]
	v_add_co_u32_e32 v6, vcc, s3, v4
	v_addc_co_u32_e32 v7, vcc, v12, v5, vcc
	s_and_b64 vcc, exec, s[16:17]
	s_cbranch_vccz .LBB6_6
; %bb.5:                                ;   in Loop: Header=BB6_4 Depth=1
	global_load_dwordx2 v[4:5], v[6:7], off
	s_cbranch_execnz .LBB6_3
	s_branch .LBB6_7
.LBB6_6:                                ;   in Loop: Header=BB6_4 Depth=1
                                        ; implicit-def: $vgpr5
.LBB6_7:                                ;   in Loop: Header=BB6_4 Depth=1
	global_load_dwordx2 v[4:5], v[6:7], off
	s_waitcnt vmcnt(0)
	v_xor_b32_e32 v5, 0x80000000, v5
	s_branch .LBB6_3
.LBB6_8:
	s_load_dwordx2 s[2:3], s[4:5], 0x80
	s_lshl_b64 s[4:5], s[10:11], 3
	s_waitcnt lgkmcnt(0)
	s_add_u32 s4, s8, s4
	s_addc_u32 s5, s9, s5
	v_mov_b32_e32 v2, s5
	v_mul_lo_u32 v0, v8, s2
	v_mad_u64_u32 v[0:1], s[2:3], v9, s3, v[0:1]
	v_ashrrev_i32_e32 v1, 31, v0
	v_lshlrev_b64 v[0:1], 3, v[0:1]
	v_add_co_u32_e32 v0, vcc, s4, v0
	v_addc_co_u32_e32 v1, vcc, v2, v1, vcc
	global_load_dwordx2 v[2:3], v[0:1], off
	v_mul_f32_e32 v4, s7, v10
	v_mul_f32_e32 v5, s6, v10
	v_fma_f32 v4, s6, v11, -v4
	v_fmac_f32_e32 v5, s7, v11
	s_waitcnt vmcnt(0)
	v_mul_f32_e32 v6, s1, v3
	v_mul_f32_e32 v3, s0, v3
	v_fma_f32 v6, s0, v2, -v6
	v_fmac_f32_e32 v3, s1, v2
	v_add_f32_e32 v2, v4, v6
	v_add_f32_e32 v3, v5, v3
	global_store_dwordx2 v[0:1], v[2:3], off
.LBB6_9:
	s_endpgm
	.section	.rodata,"a",@progbits
	.p2align	6, 0x0
	.amdhsa_kernel _ZN9rocsolver6v33100L11gemm_kernelI19rocblas_complex_numIfEiPKS3_PKPS3_S8_S8_EEvT0_S9_S9_T1_bT2_lS9_S9_lbT3_lS9_S9_lSA_T4_lS9_S9_l
		.amdhsa_group_segment_fixed_size 0
		.amdhsa_private_segment_fixed_size 0
		.amdhsa_kernarg_size 400
		.amdhsa_user_sgpr_count 6
		.amdhsa_user_sgpr_private_segment_buffer 1
		.amdhsa_user_sgpr_dispatch_ptr 0
		.amdhsa_user_sgpr_queue_ptr 0
		.amdhsa_user_sgpr_kernarg_segment_ptr 1
		.amdhsa_user_sgpr_dispatch_id 0
		.amdhsa_user_sgpr_flat_scratch_init 0
		.amdhsa_user_sgpr_kernarg_preload_length 0
		.amdhsa_user_sgpr_kernarg_preload_offset 0
		.amdhsa_user_sgpr_private_segment_size 0
		.amdhsa_uses_dynamic_stack 0
		.amdhsa_system_sgpr_private_segment_wavefront_offset 0
		.amdhsa_system_sgpr_workgroup_id_x 1
		.amdhsa_system_sgpr_workgroup_id_y 1
		.amdhsa_system_sgpr_workgroup_id_z 1
		.amdhsa_system_sgpr_workgroup_info 0
		.amdhsa_system_vgpr_workitem_id 1
		.amdhsa_next_free_vgpr 14
		.amdhsa_next_free_sgpr 29
		.amdhsa_accum_offset 16
		.amdhsa_reserve_vcc 1
		.amdhsa_reserve_flat_scratch 0
		.amdhsa_float_round_mode_32 0
		.amdhsa_float_round_mode_16_64 0
		.amdhsa_float_denorm_mode_32 3
		.amdhsa_float_denorm_mode_16_64 3
		.amdhsa_dx10_clamp 1
		.amdhsa_ieee_mode 1
		.amdhsa_fp16_overflow 0
		.amdhsa_tg_split 0
		.amdhsa_exception_fp_ieee_invalid_op 0
		.amdhsa_exception_fp_denorm_src 0
		.amdhsa_exception_fp_ieee_div_zero 0
		.amdhsa_exception_fp_ieee_overflow 0
		.amdhsa_exception_fp_ieee_underflow 0
		.amdhsa_exception_fp_ieee_inexact 0
		.amdhsa_exception_int_div_zero 0
	.end_amdhsa_kernel
	.section	.text._ZN9rocsolver6v33100L11gemm_kernelI19rocblas_complex_numIfEiPKS3_PKPS3_S8_S8_EEvT0_S9_S9_T1_bT2_lS9_S9_lbT3_lS9_S9_lSA_T4_lS9_S9_l,"axG",@progbits,_ZN9rocsolver6v33100L11gemm_kernelI19rocblas_complex_numIfEiPKS3_PKPS3_S8_S8_EEvT0_S9_S9_T1_bT2_lS9_S9_lbT3_lS9_S9_lSA_T4_lS9_S9_l,comdat
.Lfunc_end6:
	.size	_ZN9rocsolver6v33100L11gemm_kernelI19rocblas_complex_numIfEiPKS3_PKPS3_S8_S8_EEvT0_S9_S9_T1_bT2_lS9_S9_lbT3_lS9_S9_lSA_T4_lS9_S9_l, .Lfunc_end6-_ZN9rocsolver6v33100L11gemm_kernelI19rocblas_complex_numIfEiPKS3_PKPS3_S8_S8_EEvT0_S9_S9_T1_bT2_lS9_S9_lbT3_lS9_S9_lSA_T4_lS9_S9_l
                                        ; -- End function
	.section	.AMDGPU.csdata,"",@progbits
; Kernel info:
; codeLenInByte = 632
; NumSgprs: 33
; NumVgprs: 14
; NumAgprs: 0
; TotalNumVgprs: 14
; ScratchSize: 0
; MemoryBound: 0
; FloatMode: 240
; IeeeMode: 1
; LDSByteSize: 0 bytes/workgroup (compile time only)
; SGPRBlocks: 4
; VGPRBlocks: 1
; NumSGPRsForWavesPerEU: 33
; NumVGPRsForWavesPerEU: 14
; AccumOffset: 16
; Occupancy: 8
; WaveLimiterHint : 1
; COMPUTE_PGM_RSRC2:SCRATCH_EN: 0
; COMPUTE_PGM_RSRC2:USER_SGPR: 6
; COMPUTE_PGM_RSRC2:TRAP_HANDLER: 0
; COMPUTE_PGM_RSRC2:TGID_X_EN: 1
; COMPUTE_PGM_RSRC2:TGID_Y_EN: 1
; COMPUTE_PGM_RSRC2:TGID_Z_EN: 1
; COMPUTE_PGM_RSRC2:TIDIG_COMP_CNT: 1
; COMPUTE_PGM_RSRC3_GFX90A:ACCUM_OFFSET: 3
; COMPUTE_PGM_RSRC3_GFX90A:TG_SPLIT: 0
	.section	.text._ZN9rocsolver6v33100L11gemm_kernelI19rocblas_complex_numIfEiS3_PKPS3_S6_S6_EEvT0_S7_S7_T1_bT2_lS7_S7_lbT3_lS7_S7_lS8_T4_lS7_S7_l,"axG",@progbits,_ZN9rocsolver6v33100L11gemm_kernelI19rocblas_complex_numIfEiS3_PKPS3_S6_S6_EEvT0_S7_S7_T1_bT2_lS7_S7_lbT3_lS7_S7_lS8_T4_lS7_S7_l,comdat
	.globl	_ZN9rocsolver6v33100L11gemm_kernelI19rocblas_complex_numIfEiS3_PKPS3_S6_S6_EEvT0_S7_S7_T1_bT2_lS7_S7_lbT3_lS7_S7_lS8_T4_lS7_S7_l ; -- Begin function _ZN9rocsolver6v33100L11gemm_kernelI19rocblas_complex_numIfEiS3_PKPS3_S6_S6_EEvT0_S7_S7_T1_bT2_lS7_S7_lbT3_lS7_S7_lS8_T4_lS7_S7_l
	.p2align	8
	.type	_ZN9rocsolver6v33100L11gemm_kernelI19rocblas_complex_numIfEiS3_PKPS3_S6_S6_EEvT0_S7_S7_T1_bT2_lS7_S7_lbT3_lS7_S7_lS8_T4_lS7_S7_l,@function
_ZN9rocsolver6v33100L11gemm_kernelI19rocblas_complex_numIfEiS3_PKPS3_S6_S6_EEvT0_S7_S7_T1_bT2_lS7_S7_lbT3_lS7_S7_lS8_T4_lS7_S7_l: ; @_ZN9rocsolver6v33100L11gemm_kernelI19rocblas_complex_numIfEiS3_PKPS3_S6_S6_EEvT0_S7_S7_T1_bT2_lS7_S7_lbT3_lS7_S7_lS8_T4_lS7_S7_l
; %bb.0:
	s_load_dword s9, s[4:5], 0x94
	s_load_dwordx4 s[0:3], s[4:5], 0x0
	v_and_b32_e32 v1, 0x3ff, v0
	v_bfe_u32 v0, v0, 10, 10
	s_waitcnt lgkmcnt(0)
	s_lshr_b32 s10, s9, 16
	s_and_b32 s9, s9, 0xffff
	s_mul_i32 s6, s6, s9
	s_mul_i32 s7, s7, s10
	v_add_u32_e32 v8, s6, v1
	v_add_u32_e32 v9, s7, v0
	v_cmp_gt_i32_e32 vcc, s0, v8
	v_cmp_gt_i32_e64 s[0:1], s1, v9
	s_and_b64 s[0:1], vcc, s[0:1]
	s_and_saveexec_b64 s[6:7], s[0:1]
	s_cbranch_execz .LBB7_9
; %bb.1:
	s_load_dwordx4 s[12:15], s[4:5], 0x68
	s_load_dwordx2 s[6:7], s[4:5], 0x10
	s_load_dwordx2 s[0:1], s[4:5], 0x60
	s_ashr_i32 s9, s8, 31
	s_lshl_b64 s[16:17], s[8:9], 3
	s_waitcnt lgkmcnt(0)
	s_add_u32 s8, s12, s16
	s_addc_u32 s9, s13, s17
	s_load_dwordx2 s[8:9], s[8:9], 0x0
	s_cmp_lt_i32 s2, 1
	v_mov_b32_e32 v10, 0
	v_mov_b32_e32 v11, 0
	s_cbranch_scc1 .LBB7_8
; %bb.2:
	s_load_dwordx4 s[20:23], s[4:5], 0x18
	s_load_dwordx2 s[10:11], s[4:5], 0x28
	s_load_dword s28, s[4:5], 0x38
	s_load_dwordx4 s[24:27], s[4:5], 0x40
	s_load_dwordx2 s[12:13], s[4:5], 0x50
	s_waitcnt lgkmcnt(0)
	s_add_u32 s18, s20, s16
	s_addc_u32 s19, s21, s17
	s_load_dwordx2 s[20:21], s[18:19], 0x0
	s_add_u32 s16, s24, s16
	s_addc_u32 s17, s25, s17
	s_bitcmp1_b32 s7, 0
	s_load_dwordx2 s[24:25], s[16:17], 0x0
	s_cselect_b64 s[16:17], -1, 0
	s_xor_b64 s[16:17], s[16:17], -1
	s_bitcmp1_b32 s28, 0
	s_cselect_b64 s[18:19], -1, 0
	s_lshl_b64 s[22:23], s[22:23], 3
	s_waitcnt lgkmcnt(0)
	s_add_u32 s7, s20, s22
	s_addc_u32 s23, s21, s23
	s_lshl_b64 s[20:21], s[26:27], 3
	s_add_u32 s22, s24, s20
	s_addc_u32 s20, s25, s21
	v_mul_lo_u32 v0, v8, s10
	v_mul_lo_u32 v2, v9, s13
	v_mov_b32_e32 v10, 0
	v_mov_b32_e32 v12, s23
	;; [unrolled: 1-line block ×4, first 2 shown]
	s_branch .LBB7_4
.LBB7_3:                                ;   in Loop: Header=BB7_4 Depth=1
	v_ashrrev_i32_e32 v3, 31, v2
	v_lshlrev_b64 v[6:7], 3, v[2:3]
	v_add_co_u32_e32 v6, vcc, s22, v6
	v_addc_co_u32_e32 v7, vcc, v13, v7, vcc
	global_load_dwordx2 v[6:7], v[6:7], off
	s_add_i32 s2, s2, -1
	v_add_u32_e32 v2, s12, v2
	s_cmp_eq_u32 s2, 0
	v_add_u32_e32 v0, s11, v0
	s_waitcnt vmcnt(0)
	v_cndmask_b32_e64 v1, v7, -v7, s[18:19]
	v_mul_f32_e32 v3, v6, v5
	v_mul_f32_e32 v5, v1, v5
	v_fmac_f32_e32 v3, v1, v4
	v_fma_f32 v1, v6, v4, -v5
	v_add_f32_e32 v10, v10, v3
	v_add_f32_e32 v11, v11, v1
	s_cbranch_scc1 .LBB7_8
.LBB7_4:                                ; =>This Inner Loop Header: Depth=1
	v_ashrrev_i32_e32 v1, 31, v0
	v_lshlrev_b64 v[4:5], 3, v[0:1]
	v_add_co_u32_e32 v6, vcc, s7, v4
	v_addc_co_u32_e32 v7, vcc, v12, v5, vcc
	s_and_b64 vcc, exec, s[16:17]
	s_cbranch_vccz .LBB7_6
; %bb.5:                                ;   in Loop: Header=BB7_4 Depth=1
	global_load_dwordx2 v[4:5], v[6:7], off
	s_cbranch_execnz .LBB7_3
	s_branch .LBB7_7
.LBB7_6:                                ;   in Loop: Header=BB7_4 Depth=1
                                        ; implicit-def: $vgpr5
.LBB7_7:                                ;   in Loop: Header=BB7_4 Depth=1
	global_load_dwordx2 v[4:5], v[6:7], off
	s_waitcnt vmcnt(0)
	v_xor_b32_e32 v5, 0x80000000, v5
	s_branch .LBB7_3
.LBB7_8:
	s_load_dwordx2 s[4:5], s[4:5], 0x78
	s_lshl_b64 s[10:11], s[14:15], 3
	s_waitcnt lgkmcnt(0)
	s_add_u32 s2, s8, s10
	s_addc_u32 s7, s9, s11
	v_mov_b32_e32 v2, s7
	v_mul_lo_u32 v0, v8, s4
	v_mad_u64_u32 v[0:1], s[4:5], v9, s5, v[0:1]
	v_ashrrev_i32_e32 v1, 31, v0
	v_lshlrev_b64 v[0:1], 3, v[0:1]
	v_add_co_u32_e32 v0, vcc, s2, v0
	v_addc_co_u32_e32 v1, vcc, v2, v1, vcc
	global_load_dwordx2 v[2:3], v[0:1], off
	v_mul_f32_e32 v4, s6, v10
	v_mul_f32_e32 v5, s3, v10
	v_fma_f32 v4, s3, v11, -v4
	v_fmac_f32_e32 v5, s6, v11
	s_waitcnt vmcnt(0)
	v_mul_f32_e32 v6, s1, v3
	v_mul_f32_e32 v3, s0, v3
	v_fma_f32 v6, s0, v2, -v6
	v_fmac_f32_e32 v3, s1, v2
	v_add_f32_e32 v2, v4, v6
	v_add_f32_e32 v3, v5, v3
	global_store_dwordx2 v[0:1], v[2:3], off
.LBB7_9:
	s_endpgm
	.section	.rodata,"a",@progbits
	.p2align	6, 0x0
	.amdhsa_kernel _ZN9rocsolver6v33100L11gemm_kernelI19rocblas_complex_numIfEiS3_PKPS3_S6_S6_EEvT0_S7_S7_T1_bT2_lS7_S7_lbT3_lS7_S7_lS8_T4_lS7_S7_l
		.amdhsa_group_segment_fixed_size 0
		.amdhsa_private_segment_fixed_size 0
		.amdhsa_kernarg_size 392
		.amdhsa_user_sgpr_count 6
		.amdhsa_user_sgpr_private_segment_buffer 1
		.amdhsa_user_sgpr_dispatch_ptr 0
		.amdhsa_user_sgpr_queue_ptr 0
		.amdhsa_user_sgpr_kernarg_segment_ptr 1
		.amdhsa_user_sgpr_dispatch_id 0
		.amdhsa_user_sgpr_flat_scratch_init 0
		.amdhsa_user_sgpr_kernarg_preload_length 0
		.amdhsa_user_sgpr_kernarg_preload_offset 0
		.amdhsa_user_sgpr_private_segment_size 0
		.amdhsa_uses_dynamic_stack 0
		.amdhsa_system_sgpr_private_segment_wavefront_offset 0
		.amdhsa_system_sgpr_workgroup_id_x 1
		.amdhsa_system_sgpr_workgroup_id_y 1
		.amdhsa_system_sgpr_workgroup_id_z 1
		.amdhsa_system_sgpr_workgroup_info 0
		.amdhsa_system_vgpr_workitem_id 1
		.amdhsa_next_free_vgpr 14
		.amdhsa_next_free_sgpr 29
		.amdhsa_accum_offset 16
		.amdhsa_reserve_vcc 1
		.amdhsa_reserve_flat_scratch 0
		.amdhsa_float_round_mode_32 0
		.amdhsa_float_round_mode_16_64 0
		.amdhsa_float_denorm_mode_32 3
		.amdhsa_float_denorm_mode_16_64 3
		.amdhsa_dx10_clamp 1
		.amdhsa_ieee_mode 1
		.amdhsa_fp16_overflow 0
		.amdhsa_tg_split 0
		.amdhsa_exception_fp_ieee_invalid_op 0
		.amdhsa_exception_fp_denorm_src 0
		.amdhsa_exception_fp_ieee_div_zero 0
		.amdhsa_exception_fp_ieee_overflow 0
		.amdhsa_exception_fp_ieee_underflow 0
		.amdhsa_exception_fp_ieee_inexact 0
		.amdhsa_exception_int_div_zero 0
	.end_amdhsa_kernel
	.section	.text._ZN9rocsolver6v33100L11gemm_kernelI19rocblas_complex_numIfEiS3_PKPS3_S6_S6_EEvT0_S7_S7_T1_bT2_lS7_S7_lbT3_lS7_S7_lS8_T4_lS7_S7_l,"axG",@progbits,_ZN9rocsolver6v33100L11gemm_kernelI19rocblas_complex_numIfEiS3_PKPS3_S6_S6_EEvT0_S7_S7_T1_bT2_lS7_S7_lbT3_lS7_S7_lS8_T4_lS7_S7_l,comdat
.Lfunc_end7:
	.size	_ZN9rocsolver6v33100L11gemm_kernelI19rocblas_complex_numIfEiS3_PKPS3_S6_S6_EEvT0_S7_S7_T1_bT2_lS7_S7_lbT3_lS7_S7_lS8_T4_lS7_S7_l, .Lfunc_end7-_ZN9rocsolver6v33100L11gemm_kernelI19rocblas_complex_numIfEiS3_PKPS3_S6_S6_EEvT0_S7_S7_T1_bT2_lS7_S7_lbT3_lS7_S7_lS8_T4_lS7_S7_l
                                        ; -- End function
	.section	.AMDGPU.csdata,"",@progbits
; Kernel info:
; codeLenInByte = 608
; NumSgprs: 33
; NumVgprs: 14
; NumAgprs: 0
; TotalNumVgprs: 14
; ScratchSize: 0
; MemoryBound: 0
; FloatMode: 240
; IeeeMode: 1
; LDSByteSize: 0 bytes/workgroup (compile time only)
; SGPRBlocks: 4
; VGPRBlocks: 1
; NumSGPRsForWavesPerEU: 33
; NumVGPRsForWavesPerEU: 14
; AccumOffset: 16
; Occupancy: 8
; WaveLimiterHint : 1
; COMPUTE_PGM_RSRC2:SCRATCH_EN: 0
; COMPUTE_PGM_RSRC2:USER_SGPR: 6
; COMPUTE_PGM_RSRC2:TRAP_HANDLER: 0
; COMPUTE_PGM_RSRC2:TGID_X_EN: 1
; COMPUTE_PGM_RSRC2:TGID_Y_EN: 1
; COMPUTE_PGM_RSRC2:TGID_Z_EN: 1
; COMPUTE_PGM_RSRC2:TIDIG_COMP_CNT: 1
; COMPUTE_PGM_RSRC3_GFX90A:ACCUM_OFFSET: 3
; COMPUTE_PGM_RSRC3_GFX90A:TG_SPLIT: 0
	.section	.text._ZN9rocsolver6v33100L9get_arrayI19rocblas_complex_numIfEiEEvPPT_S5_lT0_,"axG",@progbits,_ZN9rocsolver6v33100L9get_arrayI19rocblas_complex_numIfEiEEvPPT_S5_lT0_,comdat
	.globl	_ZN9rocsolver6v33100L9get_arrayI19rocblas_complex_numIfEiEEvPPT_S5_lT0_ ; -- Begin function _ZN9rocsolver6v33100L9get_arrayI19rocblas_complex_numIfEiEEvPPT_S5_lT0_
	.p2align	8
	.type	_ZN9rocsolver6v33100L9get_arrayI19rocblas_complex_numIfEiEEvPPT_S5_lT0_,@function
_ZN9rocsolver6v33100L9get_arrayI19rocblas_complex_numIfEiEEvPPT_S5_lT0_: ; @_ZN9rocsolver6v33100L9get_arrayI19rocblas_complex_numIfEiEEvPPT_S5_lT0_
; %bb.0:
	s_load_dword s0, s[4:5], 0x2c
	s_load_dword s1, s[4:5], 0x18
	s_waitcnt lgkmcnt(0)
	s_and_b32 s0, s0, 0xffff
	s_mul_i32 s6, s6, s0
	v_add_u32_e32 v0, s6, v0
	v_cmp_gt_i32_e32 vcc, s1, v0
	s_and_saveexec_b64 s[0:1], vcc
	s_cbranch_execz .LBB8_2
; %bb.1:
	s_load_dwordx2 s[6:7], s[4:5], 0x10
	s_load_dwordx4 s[0:3], s[4:5], 0x0
	v_ashrrev_i32_e32 v1, 31, v0
	s_waitcnt lgkmcnt(0)
	v_mul_lo_u32 v4, v0, s7
	v_mul_lo_u32 v5, v1, s6
	v_mad_u64_u32 v[2:3], s[4:5], v0, s6, 0
	v_add3_u32 v3, v3, v4, v5
	v_lshlrev_b64 v[2:3], 3, v[2:3]
	v_mov_b32_e32 v4, s3
	v_add_co_u32_e32 v2, vcc, s2, v2
	v_addc_co_u32_e32 v3, vcc, v4, v3, vcc
	v_lshlrev_b64 v[0:1], 3, v[0:1]
	v_mov_b32_e32 v4, s1
	v_add_co_u32_e32 v0, vcc, s0, v0
	v_addc_co_u32_e32 v1, vcc, v4, v1, vcc
	global_store_dwordx2 v[0:1], v[2:3], off
.LBB8_2:
	s_endpgm
	.section	.rodata,"a",@progbits
	.p2align	6, 0x0
	.amdhsa_kernel _ZN9rocsolver6v33100L9get_arrayI19rocblas_complex_numIfEiEEvPPT_S5_lT0_
		.amdhsa_group_segment_fixed_size 0
		.amdhsa_private_segment_fixed_size 0
		.amdhsa_kernarg_size 288
		.amdhsa_user_sgpr_count 6
		.amdhsa_user_sgpr_private_segment_buffer 1
		.amdhsa_user_sgpr_dispatch_ptr 0
		.amdhsa_user_sgpr_queue_ptr 0
		.amdhsa_user_sgpr_kernarg_segment_ptr 1
		.amdhsa_user_sgpr_dispatch_id 0
		.amdhsa_user_sgpr_flat_scratch_init 0
		.amdhsa_user_sgpr_kernarg_preload_length 0
		.amdhsa_user_sgpr_kernarg_preload_offset 0
		.amdhsa_user_sgpr_private_segment_size 0
		.amdhsa_uses_dynamic_stack 0
		.amdhsa_system_sgpr_private_segment_wavefront_offset 0
		.amdhsa_system_sgpr_workgroup_id_x 1
		.amdhsa_system_sgpr_workgroup_id_y 0
		.amdhsa_system_sgpr_workgroup_id_z 0
		.amdhsa_system_sgpr_workgroup_info 0
		.amdhsa_system_vgpr_workitem_id 0
		.amdhsa_next_free_vgpr 6
		.amdhsa_next_free_sgpr 8
		.amdhsa_accum_offset 8
		.amdhsa_reserve_vcc 1
		.amdhsa_reserve_flat_scratch 0
		.amdhsa_float_round_mode_32 0
		.amdhsa_float_round_mode_16_64 0
		.amdhsa_float_denorm_mode_32 3
		.amdhsa_float_denorm_mode_16_64 3
		.amdhsa_dx10_clamp 1
		.amdhsa_ieee_mode 1
		.amdhsa_fp16_overflow 0
		.amdhsa_tg_split 0
		.amdhsa_exception_fp_ieee_invalid_op 0
		.amdhsa_exception_fp_denorm_src 0
		.amdhsa_exception_fp_ieee_div_zero 0
		.amdhsa_exception_fp_ieee_overflow 0
		.amdhsa_exception_fp_ieee_underflow 0
		.amdhsa_exception_fp_ieee_inexact 0
		.amdhsa_exception_int_div_zero 0
	.end_amdhsa_kernel
	.section	.text._ZN9rocsolver6v33100L9get_arrayI19rocblas_complex_numIfEiEEvPPT_S5_lT0_,"axG",@progbits,_ZN9rocsolver6v33100L9get_arrayI19rocblas_complex_numIfEiEEvPPT_S5_lT0_,comdat
.Lfunc_end8:
	.size	_ZN9rocsolver6v33100L9get_arrayI19rocblas_complex_numIfEiEEvPPT_S5_lT0_, .Lfunc_end8-_ZN9rocsolver6v33100L9get_arrayI19rocblas_complex_numIfEiEEvPPT_S5_lT0_
                                        ; -- End function
	.section	.AMDGPU.csdata,"",@progbits
; Kernel info:
; codeLenInByte = 156
; NumSgprs: 12
; NumVgprs: 6
; NumAgprs: 0
; TotalNumVgprs: 6
; ScratchSize: 0
; MemoryBound: 0
; FloatMode: 240
; IeeeMode: 1
; LDSByteSize: 0 bytes/workgroup (compile time only)
; SGPRBlocks: 1
; VGPRBlocks: 0
; NumSGPRsForWavesPerEU: 12
; NumVGPRsForWavesPerEU: 6
; AccumOffset: 8
; Occupancy: 8
; WaveLimiterHint : 0
; COMPUTE_PGM_RSRC2:SCRATCH_EN: 0
; COMPUTE_PGM_RSRC2:USER_SGPR: 6
; COMPUTE_PGM_RSRC2:TRAP_HANDLER: 0
; COMPUTE_PGM_RSRC2:TGID_X_EN: 1
; COMPUTE_PGM_RSRC2:TGID_Y_EN: 0
; COMPUTE_PGM_RSRC2:TGID_Z_EN: 0
; COMPUTE_PGM_RSRC2:TIDIG_COMP_CNT: 0
; COMPUTE_PGM_RSRC3_GFX90A:ACCUM_OFFSET: 1
; COMPUTE_PGM_RSRC3_GFX90A:TG_SPLIT: 0
	.section	.text._ZN9rocsolver6v33100L16mfma_gemm_kernelI19rocblas_complex_numIfEiPKS3_PS3_PKS6_S8_EEv18rocblas_operation_S9_T0_SA_SA_T1_T2_lSA_SA_lT3_lSA_SA_lSB_T4_lSA_SA_l,"axG",@progbits,_ZN9rocsolver6v33100L16mfma_gemm_kernelI19rocblas_complex_numIfEiPKS3_PS3_PKS6_S8_EEv18rocblas_operation_S9_T0_SA_SA_T1_T2_lSA_SA_lT3_lSA_SA_lSB_T4_lSA_SA_l,comdat
	.globl	_ZN9rocsolver6v33100L16mfma_gemm_kernelI19rocblas_complex_numIfEiPKS3_PS3_PKS6_S8_EEv18rocblas_operation_S9_T0_SA_SA_T1_T2_lSA_SA_lT3_lSA_SA_lSB_T4_lSA_SA_l ; -- Begin function _ZN9rocsolver6v33100L16mfma_gemm_kernelI19rocblas_complex_numIfEiPKS3_PS3_PKS6_S8_EEv18rocblas_operation_S9_T0_SA_SA_T1_T2_lSA_SA_lT3_lSA_SA_lSB_T4_lSA_SA_l
	.p2align	8
	.type	_ZN9rocsolver6v33100L16mfma_gemm_kernelI19rocblas_complex_numIfEiPKS3_PS3_PKS6_S8_EEv18rocblas_operation_S9_T0_SA_SA_T1_T2_lSA_SA_lT3_lSA_SA_lSB_T4_lSA_SA_l,@function
_ZN9rocsolver6v33100L16mfma_gemm_kernelI19rocblas_complex_numIfEiPKS3_PS3_PKS6_S8_EEv18rocblas_operation_S9_T0_SA_SA_T1_T2_lSA_SA_lT3_lSA_SA_lSB_T4_lSA_SA_l: ; @_ZN9rocsolver6v33100L16mfma_gemm_kernelI19rocblas_complex_numIfEiPKS3_PS3_PKS6_S8_EEv18rocblas_operation_S9_T0_SA_SA_T1_T2_lSA_SA_lT3_lSA_SA_lSB_T4_lSA_SA_l
; %bb.0:
	s_load_dword s0, s[6:7], 0x94
	s_load_dwordx4 s[20:23], s[6:7], 0x0
	v_and_b32_e32 v17, 0x3ff, v0
	v_bfe_u32 v1, v0, 10, 10
	v_lshrrev_b32_e32 v2, 6, v17
	s_waitcnt lgkmcnt(0)
	s_lshr_b32 s1, s0, 16
	s_bfe_u32 s0, s0, 0xa0006
	s_mul_i32 s8, s8, s0
	s_mul_i32 s9, s9, s1
	v_add_lshl_u32 v18, s8, v2, 4
	v_add_u32_e32 v2, s9, v1
	v_lshlrev_b32_e32 v19, 4, v2
	v_cmp_gt_i32_e32 vcc, s22, v18
	v_cmp_gt_i32_e64 s[0:1], s23, v19
	s_and_b64 s[0:1], vcc, s[0:1]
	s_and_saveexec_b64 s[2:3], s[0:1]
	s_cbranch_execz .LBB9_37
; %bb.1:
	s_load_dwordx2 s[8:9], s[4:5], 0x4
	s_load_dword s33, s[6:7], 0x10
	s_load_dwordx4 s[0:3], s[6:7], 0x18
	s_load_dwordx2 s[30:31], s[6:7], 0x70
	s_load_dwordx4 s[12:15], s[6:7], 0x60
	s_waitcnt lgkmcnt(0)
	s_lshr_b32 s4, s8, 16
	s_mul_i32 s4, s4, s9
	v_mul_lo_u32 v2, s4, v17
	s_ashr_i32 s4, s22, 31
	s_lshr_b32 s4, s4, 28
	s_add_i32 s4, s22, s4
	s_and_b32 s4, s4, -16
	v_mul_u32_u24_e32 v1, s9, v1
	v_bfe_u32 v0, v0, 20, 10
	s_sub_i32 s4, s22, s4
	v_add3_u32 v0, v2, v1, v0
	v_mov_b32_e32 v1, s4
	s_ashr_i32 s4, s23, 31
	s_lshr_b32 s4, s4, 28
	s_add_i32 s4, s23, s4
	v_mul_lo_u32 v23, v0, 20
	v_add_u32_e32 v0, 16, v18
	s_and_b32 s4, s4, -16
	v_cmp_lt_i32_e32 vcc, s22, v0
	s_sub_i32 s4, s23, s4
	s_ashr_i32 s11, s10, 31
	v_cndmask_b32_e32 v16, 16, v1, vcc
	v_add_u32_e32 v0, 16, v19
	v_mov_b32_e32 v1, s4
	s_lshl_b64 s[4:5], s[10:11], 3
	v_cmp_lt_i32_e32 vcc, s23, v0
	s_load_dwordx2 s[28:29], s[0:1], 0x0
	s_load_dwordx2 s[22:23], s[12:13], 0x0
	s_add_u32 s0, s14, s4
	s_addc_u32 s1, s15, s5
	s_load_dwordx2 s[34:35], s[0:1], 0x0
	v_cndmask_b32_e32 v20, 16, v1, vcc
	v_bfe_u32 v21, v17, 2, 4
	v_and_b32_e32 v22, 3, v17
	s_cmp_lt_i32 s33, 1
	v_mov_b32_e32 v1, 0
	s_mov_b32 s36, 0
	v_cmp_lt_i32_e64 s[0:1], v21, v20
	v_mbcnt_lo_u32_b32 v24, -1, 0
	v_mov_b32_e32 v2, 0
	v_mov_b32_e32 v13, 0
	;; [unrolled: 1-line block ×7, first 2 shown]
	ds_write2_b32 v23, v1, v1 offset0:2 offset1:3
	ds_write2_b32 v23, v1, v1 offset1:1
	ds_write_b32 v23, v1 offset:16
	s_cbranch_scc1 .LBB9_29
; %bb.2:
	s_load_dwordx8 s[12:19], s[6:7], 0x28
	s_load_dwordx4 s[24:27], s[6:7], 0x48
	v_and_b32_e32 v2, 63, v17
	v_lshrrev_b32_e32 v29, 4, v2
	s_waitcnt lgkmcnt(0)
	s_mul_i32 s9, s10, s17
	s_mul_hi_u32 s17, s10, s16
	s_mul_i32 s11, s11, s16
	s_add_i32 s9, s17, s9
	s_mul_i32 s8, s10, s16
	s_add_i32 s9, s9, s11
	s_lshl_b64 s[8:9], s[8:9], 3
	s_add_u32 s8, s2, s8
	s_addc_u32 s9, s3, s9
	s_lshl_b64 s[2:3], s[12:13], 3
	s_add_u32 s8, s8, s2
	s_addc_u32 s9, s9, s3
	s_add_u32 s2, s18, s4
	s_addc_u32 s3, s19, s5
	s_load_dwordx2 s[2:3], s[2:3], 0x0
	s_lshl_b64 s[4:5], s[24:25], 3
	v_mov_b32_e32 v3, s9
	s_waitcnt lgkmcnt(0)
	s_add_u32 s2, s2, s4
	s_addc_u32 s3, s3, s5
	s_cmpk_lg_i32 s20, 0x6f
	s_cselect_b64 s[10:11], -1, 0
	s_cmpk_eq_i32 s20, 0x6f
	s_cselect_b32 s4, s14, s15
	v_mul_lo_u32 v0, v18, s4
	s_cmpk_lg_i32 s21, 0x6f
	v_ashrrev_i32_e32 v1, 31, v0
	s_cselect_b64 s[12:13], -1, 0
	s_cmpk_eq_i32 s21, 0x6f
	v_lshlrev_b64 v[0:1], 3, v[0:1]
	s_cselect_b32 s4, s27, s26
	v_add_co_u32_e32 v25, vcc, s8, v0
	v_mul_lo_u32 v0, v19, s4
	v_addc_co_u32_e32 v26, vcc, v3, v1, vcc
	v_ashrrev_i32_e32 v1, 31, v0
	v_lshlrev_b64 v[0:1], 3, v[0:1]
	v_mov_b32_e32 v3, s3
	v_add_co_u32_e32 v27, vcc, s2, v0
	v_addc_co_u32_e32 v28, vcc, v3, v1, vcc
	v_and_b32_e32 v1, 15, v17
	v_mul_lo_u32 v0, v1, s14
	s_cmpk_eq_i32 s20, 0x71
	s_cselect_b64 s[16:17], -1, 0
	s_cmpk_eq_i32 s21, 0x71
	v_mad_u64_u32 v[4:5], s[20:21], s15, v29, v[0:1]
	v_mul_lo_u32 v0, s14, v22
	v_mad_u64_u32 v[6:7], s[20:21], v21, s15, v[0:1]
	v_mul_lo_u32 v0, s26, v22
	v_lshl_or_b32 v3, v1, 2, v29
	v_cmp_lt_i32_e64 s[4:5], v1, v16
	v_cmp_lt_i32_e64 s[8:9], v1, v20
	v_mul_lo_u32 v2, v1, s26
	s_cselect_b64 s[18:19], -1, 0
	s_lshl_b32 s24, s15, 2
	s_lshl_b32 s25, s14, 2
	v_mad_u64_u32 v[8:9], s[14:15], v21, s27, v[0:1]
	v_mbcnt_hi_u32_b32 v1, -1, v24
	v_mov_b32_e32 v0, 0
	v_and_or_b32 v1, v1, 64, v3
	v_cmp_lt_i32_e64 s[2:3], v21, v16
	s_lshl_b32 s26, s26, 2
	v_mad_u64_u32 v[10:11], s[14:15], s27, v29, v[2:3]
	s_lshl_b32 s27, s27, 2
	v_lshlrev_b32_e32 v30, 2, v1
	v_mov_b32_e32 v3, v0
	v_mov_b32_e32 v2, v0
	;; [unrolled: 1-line block ×3, first 2 shown]
	s_branch .LBB9_6
.LBB9_3:                                ;   in Loop: Header=BB9_6 Depth=1
	s_or_b64 exec, exec, s[20:21]
.LBB9_4:                                ;   in Loop: Header=BB9_6 Depth=1
	s_or_b64 exec, exec, s[14:15]
	s_waitcnt vmcnt(0)
	ds_bpermute_b32 v14, v30, v14
	ds_bpermute_b32 v15, v30, v15
.LBB9_5:                                ;   in Loop: Header=BB9_6 Depth=1
	s_waitcnt vmcnt(0) lgkmcnt(0)
	v_cndmask_b32_e64 v7, v13, -v13, s[16:17]
	v_cndmask_b32_e64 v5, v15, -v15, s[18:19]
	v_mfma_f32_16x16x4f32 v[32:35], v12, v14, 0
	s_add_i32 s36, s36, 4
	v_add_u32_e32 v4, s24, v4
	v_add_u32_e32 v6, s25, v6
	;; [unrolled: 1-line block ×3, first 2 shown]
	s_cmp_ge_i32 s36, s33
	v_add_u32_e32 v10, s27, v10
	v_mfma_f32_16x16x4f32 v[40:43], v7, v5, 0
	v_mfma_f32_16x16x4f32 v[36:39], v12, v5, 0
	ds_read2_b32 v[12:13], v23 offset1:1
	ds_read2_b32 v[44:45], v23 offset0:3 offset1:4
	ds_read2_b32 v[46:47], v23 offset0:2 offset1:3
	;; [unrolled: 1-line block ×3, first 2 shown]
	s_nop 5
	v_sub_f32_e32 v35, v35, v43
	v_sub_f32_e32 v34, v34, v42
	;; [unrolled: 1-line block ×4, first 2 shown]
	s_waitcnt lgkmcnt(1)
	v_mov_b32_e32 v13, v46
	v_pk_add_f32 v[12:13], v[12:13], v[32:33]
	v_pk_add_f32 v[0:1], v[0:1], v[34:35]
	v_mfma_f32_16x16x4f32 v[32:35], v7, v14, 0
	s_waitcnt lgkmcnt(0)
	v_mov_b32_e32 v49, v44
	s_nop 7
	s_nop 0
	v_pk_add_f32 v[14:15], v[38:39], v[34:35]
	v_pk_add_f32 v[32:33], v[36:37], v[32:33]
	;; [unrolled: 1-line block ×4, first 2 shown]
	ds_write2_b32 v23, v12, v14 offset1:1
	v_mov_b32_e32 v12, v13
	v_mov_b32_e32 v5, v15
	ds_write2_b32 v23, v13, v15 offset0:2 offset1:3
	ds_write_b32 v23, v0 offset:16
	s_cbranch_scc1 .LBB9_28
.LBB9_6:                                ; =>This Inner Loop Header: Depth=1
	s_and_b64 vcc, exec, s[10:11]
	s_cbranch_vccz .LBB9_18
; %bb.7:                                ;   in Loop: Header=BB9_6 Depth=1
	v_mov_b32_e32 v12, 0
	v_mov_b32_e32 v13, 0
	s_and_saveexec_b64 s[14:15], s[2:3]
	s_cbranch_execz .LBB9_11
; %bb.8:                                ;   in Loop: Header=BB9_6 Depth=1
	v_add_u32_e32 v5, s36, v22
	v_cmp_gt_i32_e32 vcc, s33, v5
	v_mov_b32_e32 v13, 0
	v_mov_b32_e32 v12, 0
	s_and_saveexec_b64 s[20:21], vcc
	s_cbranch_execz .LBB9_10
; %bb.9:                                ;   in Loop: Header=BB9_6 Depth=1
	v_ashrrev_i32_e32 v7, 31, v6
	v_lshlrev_b64 v[12:13], 3, v[6:7]
	v_add_co_u32_e32 v12, vcc, v25, v12
	v_addc_co_u32_e32 v13, vcc, v26, v13, vcc
	global_load_dwordx2 v[12:13], v[12:13], off
.LBB9_10:                               ;   in Loop: Header=BB9_6 Depth=1
	s_or_b64 exec, exec, s[20:21]
.LBB9_11:                               ;   in Loop: Header=BB9_6 Depth=1
	s_or_b64 exec, exec, s[14:15]
	s_waitcnt vmcnt(0)
	ds_bpermute_b32 v12, v30, v12
	ds_bpermute_b32 v13, v30, v13
.LBB9_12:                               ;   in Loop: Header=BB9_6 Depth=1
	s_and_b64 vcc, exec, s[12:13]
	s_cbranch_vccz .LBB9_24
.LBB9_13:                               ;   in Loop: Header=BB9_6 Depth=1
	v_mov_b32_e32 v15, 0
	v_mov_b32_e32 v14, 0
	s_and_saveexec_b64 s[14:15], s[8:9]
	s_cbranch_execz .LBB9_17
; %bb.14:                               ;   in Loop: Header=BB9_6 Depth=1
	v_add_u32_e32 v5, s36, v29
	v_cmp_gt_i32_e32 vcc, s33, v5
	v_mov_b32_e32 v15, 0
	v_mov_b32_e32 v14, 0
	s_and_saveexec_b64 s[20:21], vcc
	s_cbranch_execz .LBB9_16
; %bb.15:                               ;   in Loop: Header=BB9_6 Depth=1
	v_ashrrev_i32_e32 v11, 31, v10
	v_lshlrev_b64 v[14:15], 3, v[10:11]
	v_add_co_u32_e32 v14, vcc, v27, v14
	v_addc_co_u32_e32 v15, vcc, v28, v15, vcc
	global_load_dwordx2 v[14:15], v[14:15], off
.LBB9_16:                               ;   in Loop: Header=BB9_6 Depth=1
	s_or_b64 exec, exec, s[20:21]
.LBB9_17:                               ;   in Loop: Header=BB9_6 Depth=1
	s_or_b64 exec, exec, s[14:15]
	s_cbranch_execnz .LBB9_5
	s_branch .LBB9_25
.LBB9_18:                               ;   in Loop: Header=BB9_6 Depth=1
                                        ; implicit-def: $vgpr13
	s_cbranch_execz .LBB9_12
; %bb.19:                               ;   in Loop: Header=BB9_6 Depth=1
	s_waitcnt lgkmcnt(0)
	v_mov_b32_e32 v13, 0
	v_mov_b32_e32 v12, 0
	s_and_saveexec_b64 s[14:15], s[4:5]
	s_cbranch_execz .LBB9_23
; %bb.20:                               ;   in Loop: Header=BB9_6 Depth=1
	v_add_u32_e32 v5, s36, v29
	v_cmp_gt_i32_e32 vcc, s33, v5
	v_mov_b32_e32 v13, 0
	v_mov_b32_e32 v12, 0
	s_and_saveexec_b64 s[20:21], vcc
	s_cbranch_execz .LBB9_22
; %bb.21:                               ;   in Loop: Header=BB9_6 Depth=1
	v_ashrrev_i32_e32 v5, 31, v4
	v_lshlrev_b64 v[12:13], 3, v[4:5]
	v_add_co_u32_e32 v12, vcc, v25, v12
	v_addc_co_u32_e32 v13, vcc, v26, v13, vcc
	global_load_dwordx2 v[12:13], v[12:13], off
.LBB9_22:                               ;   in Loop: Header=BB9_6 Depth=1
	s_or_b64 exec, exec, s[20:21]
.LBB9_23:                               ;   in Loop: Header=BB9_6 Depth=1
	s_or_b64 exec, exec, s[14:15]
	s_and_b64 vcc, exec, s[12:13]
	s_cbranch_vccnz .LBB9_13
.LBB9_24:                               ;   in Loop: Header=BB9_6 Depth=1
                                        ; implicit-def: $vgpr15
.LBB9_25:                               ;   in Loop: Header=BB9_6 Depth=1
	s_waitcnt vmcnt(0)
	v_mov_b32_e32 v14, 0
	v_mov_b32_e32 v15, 0
	s_and_saveexec_b64 s[14:15], s[0:1]
	s_cbranch_execz .LBB9_4
; %bb.26:                               ;   in Loop: Header=BB9_6 Depth=1
	v_add_u32_e32 v5, s36, v22
	v_cmp_gt_i32_e32 vcc, s33, v5
	v_mov_b32_e32 v15, 0
	v_mov_b32_e32 v14, 0
	s_and_saveexec_b64 s[20:21], vcc
	s_cbranch_execz .LBB9_3
; %bb.27:                               ;   in Loop: Header=BB9_6 Depth=1
	v_ashrrev_i32_e32 v9, 31, v8
	v_lshlrev_b64 v[14:15], 3, v[8:9]
	v_add_co_u32_e32 v14, vcc, v27, v14
	v_addc_co_u32_e32 v15, vcc, v28, v15, vcc
	global_load_dwordx2 v[14:15], v[14:15], off
	s_branch .LBB9_3
.LBB9_28:
	ds_read_b32 v4, v23
.LBB9_29:
	s_load_dwordx2 s[2:3], s[6:7], 0x78
	s_lshl_b64 s[0:1], s[30:31], 3
	s_waitcnt lgkmcnt(0)
	s_add_u32 s4, s34, s0
	s_addc_u32 s5, s35, s1
	v_mov_b32_e32 v8, s5
	v_mul_lo_u32 v6, v18, s2
	v_mad_u64_u32 v[6:7], s[0:1], v19, s3, v[6:7]
	v_ashrrev_i32_e32 v7, 31, v6
	v_lshlrev_b64 v[6:7], 3, v[6:7]
	v_add_co_u32_e32 v5, vcc, s4, v6
	v_addc_co_u32_e32 v6, vcc, v8, v7, vcc
	v_lshlrev_b32_e32 v8, 4, v17
	v_mbcnt_hi_u32_b32 v9, -1, v24
	v_and_b32_e32 v8, 48, v8
	v_and_b32_e32 v9, 64, v9
	v_or3_b32 v8, v8, v9, v21
	v_lshlrev_b32_e32 v8, 2, v8
	ds_bpermute_b32 v9, v8, v4
	ds_bpermute_b32 v10, v8, v14
	v_lshlrev_b32_e32 v7, 2, v22
	v_cmp_lt_i32_e32 vcc, v21, v20
	v_cmp_lt_i32_e64 s[0:1], v7, v16
	v_mul_lo_u32 v4, v21, s3
	s_and_b64 s[0:1], vcc, s[0:1]
	s_and_saveexec_b64 s[4:5], s[0:1]
	s_cbranch_execz .LBB9_31
; %bb.30:
	v_mad_u64_u32 v[18:19], s[0:1], v7, s2, v[4:5]
	v_ashrrev_i32_e32 v19, 31, v18
	v_lshlrev_b64 v[18:19], 3, v[18:19]
	v_add_co_u32_e64 v18, s[0:1], v5, v18
	v_addc_co_u32_e64 v19, s[0:1], v6, v19, s[0:1]
	global_load_dwordx2 v[20:21], v[18:19], off
	s_waitcnt lgkmcnt(0)
	v_mul_f32_e32 v11, s29, v10
	v_mul_f32_e32 v12, s29, v9
	v_fma_f32 v9, s28, v9, -v11
	v_fmac_f32_e32 v12, s28, v10
	s_waitcnt vmcnt(0)
	v_mul_f32_e32 v10, s23, v21
	v_mul_f32_e32 v11, s22, v21
	v_fma_f32 v10, s22, v20, -v10
	v_fmac_f32_e32 v11, s23, v20
	v_add_f32_e32 v10, v9, v10
	v_add_f32_e32 v11, v12, v11
	global_store_dwordx2 v[18:19], v[10:11], off
.LBB9_31:
	s_or_b64 exec, exec, s[4:5]
	s_waitcnt lgkmcnt(1)
	ds_bpermute_b32 v9, v8, v13
	s_waitcnt lgkmcnt(1)
	ds_bpermute_b32 v10, v8, v15
	v_or_b32_e32 v11, 1, v7
	v_cmp_lt_i32_e64 s[0:1], v11, v16
	s_and_b64 s[0:1], vcc, s[0:1]
	s_and_saveexec_b64 s[4:5], s[0:1]
	s_cbranch_execz .LBB9_33
; %bb.32:
	v_mad_u64_u32 v[12:13], s[0:1], v11, s2, v[4:5]
	v_ashrrev_i32_e32 v13, 31, v12
	v_lshlrev_b64 v[12:13], 3, v[12:13]
	v_add_co_u32_e64 v12, s[0:1], v5, v12
	v_addc_co_u32_e64 v13, s[0:1], v6, v13, s[0:1]
	global_load_dwordx2 v[14:15], v[12:13], off
	s_waitcnt lgkmcnt(0)
	v_mul_f32_e32 v11, s29, v10
	v_mul_f32_e32 v17, s28, v10
	v_fma_f32 v10, s28, v9, -v11
	v_fmac_f32_e32 v17, s29, v9
	s_waitcnt vmcnt(0)
	v_mul_f32_e32 v9, s23, v15
	v_mul_f32_e32 v11, s22, v15
	v_fma_f32 v9, s22, v14, -v9
	v_fmac_f32_e32 v11, s23, v14
	v_add_f32_e32 v10, v10, v9
	v_add_f32_e32 v11, v17, v11
	global_store_dwordx2 v[12:13], v[10:11], off
.LBB9_33:
	s_or_b64 exec, exec, s[4:5]
	ds_bpermute_b32 v0, v8, v0
	ds_bpermute_b32 v2, v8, v2
	s_waitcnt lgkmcnt(3)
	v_or_b32_e32 v9, 2, v7
	v_cmp_lt_i32_e64 s[0:1], v9, v16
	s_and_b64 s[0:1], vcc, s[0:1]
	s_and_saveexec_b64 s[4:5], s[0:1]
	s_cbranch_execz .LBB9_35
; %bb.34:
	s_waitcnt lgkmcnt(2)
	v_mad_u64_u32 v[10:11], s[0:1], v9, s2, v[4:5]
	v_ashrrev_i32_e32 v11, 31, v10
	v_lshlrev_b64 v[10:11], 3, v[10:11]
	v_add_co_u32_e64 v10, s[0:1], v5, v10
	v_addc_co_u32_e64 v11, s[0:1], v6, v11, s[0:1]
	global_load_dwordx2 v[12:13], v[10:11], off
	s_waitcnt lgkmcnt(0)
	v_mul_f32_e32 v9, s29, v2
	v_mul_f32_e32 v2, s28, v2
	v_fma_f32 v9, s28, v0, -v9
	v_fmac_f32_e32 v2, s29, v0
	s_waitcnt vmcnt(0)
	v_mul_f32_e32 v0, s23, v13
	v_mul_f32_e32 v13, s22, v13
	v_fma_f32 v0, s22, v12, -v0
	v_fmac_f32_e32 v13, s23, v12
	v_add_f32_e32 v12, v9, v0
	v_add_f32_e32 v13, v2, v13
	global_store_dwordx2 v[10:11], v[12:13], off
.LBB9_35:
	s_or_b64 exec, exec, s[4:5]
	s_waitcnt lgkmcnt(1)
	ds_bpermute_b32 v0, v8, v1
	ds_bpermute_b32 v1, v8, v3
	s_waitcnt lgkmcnt(2)
	v_or_b32_e32 v2, 3, v7
	v_cmp_lt_i32_e64 s[0:1], v2, v16
	s_and_b64 s[0:1], vcc, s[0:1]
	s_and_b64 exec, exec, s[0:1]
	s_cbranch_execz .LBB9_37
; %bb.36:
	v_mad_u64_u32 v[2:3], s[0:1], v2, s2, v[4:5]
	v_ashrrev_i32_e32 v3, 31, v2
	v_lshlrev_b64 v[2:3], 3, v[2:3]
	v_add_co_u32_e32 v2, vcc, v5, v2
	v_addc_co_u32_e32 v3, vcc, v6, v3, vcc
	global_load_dwordx2 v[4:5], v[2:3], off
	s_waitcnt lgkmcnt(0)
	v_mul_f32_e32 v6, s29, v1
	v_mul_f32_e32 v1, s28, v1
	v_fma_f32 v6, s28, v0, -v6
	v_fmac_f32_e32 v1, s29, v0
	s_waitcnt vmcnt(0)
	v_mul_f32_e32 v0, s23, v5
	v_mul_f32_e32 v5, s22, v5
	v_fma_f32 v0, s22, v4, -v0
	v_fmac_f32_e32 v5, s23, v4
	v_add_f32_e32 v0, v6, v0
	v_add_f32_e32 v1, v1, v5
	global_store_dwordx2 v[2:3], v[0:1], off
.LBB9_37:
	s_endpgm
	.section	.rodata,"a",@progbits
	.p2align	6, 0x0
	.amdhsa_kernel _ZN9rocsolver6v33100L16mfma_gemm_kernelI19rocblas_complex_numIfEiPKS3_PS3_PKS6_S8_EEv18rocblas_operation_S9_T0_SA_SA_T1_T2_lSA_SA_lT3_lSA_SA_lSB_T4_lSA_SA_l
		.amdhsa_group_segment_fixed_size 20480
		.amdhsa_private_segment_fixed_size 0
		.amdhsa_kernarg_size 392
		.amdhsa_user_sgpr_count 8
		.amdhsa_user_sgpr_private_segment_buffer 1
		.amdhsa_user_sgpr_dispatch_ptr 1
		.amdhsa_user_sgpr_queue_ptr 0
		.amdhsa_user_sgpr_kernarg_segment_ptr 1
		.amdhsa_user_sgpr_dispatch_id 0
		.amdhsa_user_sgpr_flat_scratch_init 0
		.amdhsa_user_sgpr_kernarg_preload_length 0
		.amdhsa_user_sgpr_kernarg_preload_offset 0
		.amdhsa_user_sgpr_private_segment_size 0
		.amdhsa_uses_dynamic_stack 0
		.amdhsa_system_sgpr_private_segment_wavefront_offset 0
		.amdhsa_system_sgpr_workgroup_id_x 1
		.amdhsa_system_sgpr_workgroup_id_y 1
		.amdhsa_system_sgpr_workgroup_id_z 1
		.amdhsa_system_sgpr_workgroup_info 0
		.amdhsa_system_vgpr_workitem_id 2
		.amdhsa_next_free_vgpr 50
		.amdhsa_next_free_sgpr 37
		.amdhsa_accum_offset 52
		.amdhsa_reserve_vcc 1
		.amdhsa_reserve_flat_scratch 0
		.amdhsa_float_round_mode_32 0
		.amdhsa_float_round_mode_16_64 0
		.amdhsa_float_denorm_mode_32 3
		.amdhsa_float_denorm_mode_16_64 3
		.amdhsa_dx10_clamp 1
		.amdhsa_ieee_mode 1
		.amdhsa_fp16_overflow 0
		.amdhsa_tg_split 0
		.amdhsa_exception_fp_ieee_invalid_op 0
		.amdhsa_exception_fp_denorm_src 0
		.amdhsa_exception_fp_ieee_div_zero 0
		.amdhsa_exception_fp_ieee_overflow 0
		.amdhsa_exception_fp_ieee_underflow 0
		.amdhsa_exception_fp_ieee_inexact 0
		.amdhsa_exception_int_div_zero 0
	.end_amdhsa_kernel
	.section	.text._ZN9rocsolver6v33100L16mfma_gemm_kernelI19rocblas_complex_numIfEiPKS3_PS3_PKS6_S8_EEv18rocblas_operation_S9_T0_SA_SA_T1_T2_lSA_SA_lT3_lSA_SA_lSB_T4_lSA_SA_l,"axG",@progbits,_ZN9rocsolver6v33100L16mfma_gemm_kernelI19rocblas_complex_numIfEiPKS3_PS3_PKS6_S8_EEv18rocblas_operation_S9_T0_SA_SA_T1_T2_lSA_SA_lT3_lSA_SA_lSB_T4_lSA_SA_l,comdat
.Lfunc_end9:
	.size	_ZN9rocsolver6v33100L16mfma_gemm_kernelI19rocblas_complex_numIfEiPKS3_PS3_PKS6_S8_EEv18rocblas_operation_S9_T0_SA_SA_T1_T2_lSA_SA_lT3_lSA_SA_lSB_T4_lSA_SA_l, .Lfunc_end9-_ZN9rocsolver6v33100L16mfma_gemm_kernelI19rocblas_complex_numIfEiPKS3_PS3_PKS6_S8_EEv18rocblas_operation_S9_T0_SA_SA_T1_T2_lSA_SA_lT3_lSA_SA_lSB_T4_lSA_SA_l
                                        ; -- End function
	.section	.AMDGPU.csdata,"",@progbits
; Kernel info:
; codeLenInByte = 2140
; NumSgprs: 41
; NumVgprs: 50
; NumAgprs: 0
; TotalNumVgprs: 50
; ScratchSize: 0
; MemoryBound: 0
; FloatMode: 240
; IeeeMode: 1
; LDSByteSize: 20480 bytes/workgroup (compile time only)
; SGPRBlocks: 5
; VGPRBlocks: 6
; NumSGPRsForWavesPerEU: 41
; NumVGPRsForWavesPerEU: 50
; AccumOffset: 52
; Occupancy: 8
; WaveLimiterHint : 1
; COMPUTE_PGM_RSRC2:SCRATCH_EN: 0
; COMPUTE_PGM_RSRC2:USER_SGPR: 8
; COMPUTE_PGM_RSRC2:TRAP_HANDLER: 0
; COMPUTE_PGM_RSRC2:TGID_X_EN: 1
; COMPUTE_PGM_RSRC2:TGID_Y_EN: 1
; COMPUTE_PGM_RSRC2:TGID_Z_EN: 1
; COMPUTE_PGM_RSRC2:TIDIG_COMP_CNT: 2
; COMPUTE_PGM_RSRC3_GFX90A:ACCUM_OFFSET: 12
; COMPUTE_PGM_RSRC3_GFX90A:TG_SPLIT: 0
	.section	.text._ZN9rocsolver6v33100L16mfma_gemm_kernelI19rocblas_complex_numIfEiS3_PS3_PKS4_S6_EEv18rocblas_operation_S7_T0_S8_S8_T1_T2_lS8_S8_lT3_lS8_S8_lS9_T4_lS8_S8_l,"axG",@progbits,_ZN9rocsolver6v33100L16mfma_gemm_kernelI19rocblas_complex_numIfEiS3_PS3_PKS4_S6_EEv18rocblas_operation_S7_T0_S8_S8_T1_T2_lS8_S8_lT3_lS8_S8_lS9_T4_lS8_S8_l,comdat
	.globl	_ZN9rocsolver6v33100L16mfma_gemm_kernelI19rocblas_complex_numIfEiS3_PS3_PKS4_S6_EEv18rocblas_operation_S7_T0_S8_S8_T1_T2_lS8_S8_lT3_lS8_S8_lS9_T4_lS8_S8_l ; -- Begin function _ZN9rocsolver6v33100L16mfma_gemm_kernelI19rocblas_complex_numIfEiS3_PS3_PKS4_S6_EEv18rocblas_operation_S7_T0_S8_S8_T1_T2_lS8_S8_lT3_lS8_S8_lS9_T4_lS8_S8_l
	.p2align	8
	.type	_ZN9rocsolver6v33100L16mfma_gemm_kernelI19rocblas_complex_numIfEiS3_PS3_PKS4_S6_EEv18rocblas_operation_S7_T0_S8_S8_T1_T2_lS8_S8_lT3_lS8_S8_lS9_T4_lS8_S8_l,@function
_ZN9rocsolver6v33100L16mfma_gemm_kernelI19rocblas_complex_numIfEiS3_PS3_PKS4_S6_EEv18rocblas_operation_S7_T0_S8_S8_T1_T2_lS8_S8_lT3_lS8_S8_lS9_T4_lS8_S8_l: ; @_ZN9rocsolver6v33100L16mfma_gemm_kernelI19rocblas_complex_numIfEiS3_PS3_PKS4_S6_EEv18rocblas_operation_S7_T0_S8_S8_T1_T2_lS8_S8_lT3_lS8_S8_lS9_T4_lS8_S8_l
; %bb.0:
	s_load_dword s0, s[6:7], 0x94
	s_load_dwordx4 s[28:31], s[6:7], 0x0
	v_and_b32_e32 v17, 0x3ff, v0
	v_bfe_u32 v1, v0, 10, 10
	v_lshrrev_b32_e32 v2, 6, v17
	s_waitcnt lgkmcnt(0)
	s_lshr_b32 s1, s0, 16
	s_bfe_u32 s0, s0, 0xa0006
	s_mul_i32 s8, s8, s0
	s_mul_i32 s9, s9, s1
	v_add_lshl_u32 v18, s8, v2, 4
	v_add_u32_e32 v2, s9, v1
	v_lshlrev_b32_e32 v19, 4, v2
	v_cmp_gt_i32_e32 vcc, s30, v18
	v_cmp_gt_i32_e64 s[0:1], s31, v19
	s_and_b64 s[0:1], vcc, s[0:1]
	s_and_saveexec_b64 s[2:3], s[0:1]
	s_cbranch_execz .LBB10_37
; %bb.1:
	s_load_dwordx2 s[0:1], s[4:5], 0x4
	s_load_dwordx4 s[20:23], s[6:7], 0x10
	s_load_dwordx2 s[34:35], s[6:7], 0x60
	s_load_dwordx4 s[24:27], s[6:7], 0x68
	v_bfe_u32 v0, v0, 20, 10
	s_waitcnt lgkmcnt(0)
	s_lshr_b32 s0, s0, 16
	s_mul_i32 s0, s0, s1
	v_mul_lo_u32 v2, s0, v17
	s_ashr_i32 s0, s30, 31
	s_lshr_b32 s0, s0, 28
	s_add_i32 s0, s30, s0
	s_and_b32 s0, s0, -16
	v_mul_u32_u24_e32 v1, s1, v1
	s_sub_i32 s0, s30, s0
	v_add3_u32 v0, v2, v1, v0
	v_mov_b32_e32 v1, s0
	s_ashr_i32 s0, s31, 31
	s_lshr_b32 s0, s0, 28
	s_add_i32 s0, s31, s0
	v_mul_lo_u32 v24, v0, 20
	v_add_u32_e32 v0, 16, v18
	s_and_b32 s0, s0, -16
	s_ashr_i32 s11, s10, 31
	v_cmp_lt_i32_e32 vcc, s30, v0
	s_sub_i32 s0, s31, s0
	s_lshl_b64 s[2:3], s[10:11], 3
	v_cndmask_b32_e32 v16, 16, v1, vcc
	v_mov_b32_e32 v1, s0
	s_add_u32 s0, s24, s2
	s_addc_u32 s1, s25, s3
	s_load_dwordx2 s[24:25], s[0:1], 0x0
	v_add_u32_e32 v0, 16, v19
	v_cmp_lt_i32_e32 vcc, s31, v0
	v_cndmask_b32_e32 v20, 16, v1, vcc
	v_bfe_u32 v21, v17, 2, 4
	v_and_b32_e32 v22, 3, v17
	s_cmp_lt_i32 s20, 1
	v_mov_b32_e32 v1, 0
	s_mov_b32 s23, 0
	v_cmp_lt_i32_e64 s[0:1], v21, v20
	v_mbcnt_lo_u32_b32 v23, -1, 0
	v_mov_b32_e32 v2, 0
	v_mov_b32_e32 v13, 0
	;; [unrolled: 1-line block ×7, first 2 shown]
	ds_write2_b32 v24, v1, v1 offset0:2 offset1:3
	ds_write2_b32 v24, v1, v1 offset1:1
	ds_write_b32 v24, v1 offset:16
	s_cbranch_scc1 .LBB10_29
; %bb.2:
	s_load_dwordx8 s[12:19], s[6:7], 0x38
	s_load_dwordx4 s[36:39], s[6:7], 0x20
	s_load_dwordx2 s[40:41], s[6:7], 0x30
	v_and_b32_e32 v2, 63, v17
	v_lshrrev_b32_e32 v29, 4, v2
	s_waitcnt lgkmcnt(0)
	s_mul_i32 s4, s10, s13
	s_mul_hi_u32 s5, s10, s12
	s_mul_i32 s8, s11, s12
	s_add_i32 s4, s5, s4
	s_add_i32 s5, s4, s8
	s_mul_i32 s4, s10, s12
	s_lshl_b64 s[4:5], s[4:5], 3
	s_add_u32 s8, s36, s4
	s_addc_u32 s9, s37, s5
	s_lshl_b64 s[4:5], s[38:39], 3
	s_add_u32 s8, s8, s4
	s_addc_u32 s9, s9, s5
	s_add_u32 s2, s14, s2
	s_addc_u32 s3, s15, s3
	s_load_dwordx2 s[2:3], s[2:3], 0x0
	s_lshl_b64 s[4:5], s[16:17], 3
	v_mov_b32_e32 v3, s9
	s_waitcnt lgkmcnt(0)
	s_add_u32 s2, s2, s4
	s_addc_u32 s3, s3, s5
	s_cmpk_lg_i32 s28, 0x6f
	s_cselect_b64 s[10:11], -1, 0
	s_cmpk_eq_i32 s28, 0x6f
	s_cselect_b32 s4, s40, s41
	v_mul_lo_u32 v0, v18, s4
	s_cmpk_lg_i32 s29, 0x6f
	v_ashrrev_i32_e32 v1, 31, v0
	s_cselect_b64 s[12:13], -1, 0
	s_cmpk_eq_i32 s29, 0x6f
	v_lshlrev_b64 v[0:1], 3, v[0:1]
	s_cselect_b32 s4, s19, s18
	v_add_co_u32_e32 v25, vcc, s8, v0
	v_mul_lo_u32 v0, v19, s4
	v_addc_co_u32_e32 v26, vcc, v3, v1, vcc
	v_ashrrev_i32_e32 v1, 31, v0
	v_lshlrev_b64 v[0:1], 3, v[0:1]
	v_mov_b32_e32 v3, s3
	v_add_co_u32_e32 v27, vcc, s2, v0
	v_addc_co_u32_e32 v28, vcc, v3, v1, vcc
	v_and_b32_e32 v1, 15, v17
	v_mul_lo_u32 v0, v1, s40
	s_cmpk_eq_i32 s28, 0x71
	s_cselect_b64 s[14:15], -1, 0
	s_cmpk_eq_i32 s29, 0x71
	v_mad_u64_u32 v[4:5], s[28:29], s41, v29, v[0:1]
	v_mul_lo_u32 v0, s40, v22
	v_mad_u64_u32 v[6:7], s[28:29], v21, s41, v[0:1]
	v_mul_lo_u32 v0, s18, v22
	v_lshl_or_b32 v3, v1, 2, v29
	v_cmp_lt_i32_e64 s[4:5], v1, v16
	v_cmp_lt_i32_e64 s[8:9], v1, v20
	v_mul_lo_u32 v2, v1, s18
	v_mad_u64_u32 v[8:9], s[28:29], v21, s19, v[0:1]
	v_mbcnt_hi_u32_b32 v1, -1, v23
	v_mov_b32_e32 v0, 0
	v_and_or_b32 v1, v1, 64, v3
	v_cmp_lt_i32_e64 s[2:3], v21, v16
	s_cselect_b64 s[16:17], -1, 0
	s_lshl_b32 s30, s41, 2
	s_lshl_b32 s31, s40, 2
	;; [unrolled: 1-line block ×3, first 2 shown]
	v_mad_u64_u32 v[10:11], s[28:29], s19, v29, v[2:3]
	s_lshl_b32 s36, s19, 2
	v_lshlrev_b32_e32 v30, 2, v1
	v_mov_b32_e32 v3, v0
	v_mov_b32_e32 v2, v0
	;; [unrolled: 1-line block ×3, first 2 shown]
	s_branch .LBB10_6
.LBB10_3:                               ;   in Loop: Header=BB10_6 Depth=1
	s_or_b64 exec, exec, s[28:29]
.LBB10_4:                               ;   in Loop: Header=BB10_6 Depth=1
	s_or_b64 exec, exec, s[18:19]
	s_waitcnt vmcnt(0)
	ds_bpermute_b32 v14, v30, v14
	ds_bpermute_b32 v15, v30, v15
.LBB10_5:                               ;   in Loop: Header=BB10_6 Depth=1
	s_waitcnt vmcnt(0) lgkmcnt(0)
	v_cndmask_b32_e64 v7, v13, -v13, s[14:15]
	v_cndmask_b32_e64 v5, v15, -v15, s[16:17]
	v_mfma_f32_16x16x4f32 v[32:35], v12, v14, 0
	s_add_i32 s23, s23, 4
	v_add_u32_e32 v4, s30, v4
	v_add_u32_e32 v6, s31, v6
	;; [unrolled: 1-line block ×3, first 2 shown]
	s_cmp_ge_i32 s23, s20
	v_add_u32_e32 v10, s36, v10
	v_mfma_f32_16x16x4f32 v[40:43], v7, v5, 0
	v_mfma_f32_16x16x4f32 v[36:39], v12, v5, 0
	ds_read2_b32 v[12:13], v24 offset1:1
	ds_read2_b32 v[44:45], v24 offset0:3 offset1:4
	ds_read2_b32 v[46:47], v24 offset0:2 offset1:3
	;; [unrolled: 1-line block ×3, first 2 shown]
	s_nop 5
	v_sub_f32_e32 v35, v35, v43
	v_sub_f32_e32 v34, v34, v42
	;; [unrolled: 1-line block ×4, first 2 shown]
	s_waitcnt lgkmcnt(1)
	v_mov_b32_e32 v13, v46
	v_pk_add_f32 v[12:13], v[12:13], v[32:33]
	v_pk_add_f32 v[0:1], v[0:1], v[34:35]
	v_mfma_f32_16x16x4f32 v[32:35], v7, v14, 0
	s_waitcnt lgkmcnt(0)
	v_mov_b32_e32 v49, v44
	s_nop 7
	s_nop 0
	v_pk_add_f32 v[14:15], v[38:39], v[34:35]
	v_pk_add_f32 v[32:33], v[36:37], v[32:33]
	;; [unrolled: 1-line block ×4, first 2 shown]
	ds_write2_b32 v24, v12, v14 offset1:1
	v_mov_b32_e32 v12, v13
	v_mov_b32_e32 v5, v15
	ds_write2_b32 v24, v13, v15 offset0:2 offset1:3
	ds_write_b32 v24, v0 offset:16
	s_cbranch_scc1 .LBB10_28
.LBB10_6:                               ; =>This Inner Loop Header: Depth=1
	s_and_b64 vcc, exec, s[10:11]
	s_cbranch_vccz .LBB10_18
; %bb.7:                                ;   in Loop: Header=BB10_6 Depth=1
	v_mov_b32_e32 v12, 0
	v_mov_b32_e32 v13, 0
	s_and_saveexec_b64 s[18:19], s[2:3]
	s_cbranch_execz .LBB10_11
; %bb.8:                                ;   in Loop: Header=BB10_6 Depth=1
	v_add_u32_e32 v5, s23, v22
	v_cmp_gt_i32_e32 vcc, s20, v5
	v_mov_b32_e32 v13, 0
	v_mov_b32_e32 v12, 0
	s_and_saveexec_b64 s[28:29], vcc
	s_cbranch_execz .LBB10_10
; %bb.9:                                ;   in Loop: Header=BB10_6 Depth=1
	v_ashrrev_i32_e32 v7, 31, v6
	v_lshlrev_b64 v[12:13], 3, v[6:7]
	v_add_co_u32_e32 v12, vcc, v25, v12
	v_addc_co_u32_e32 v13, vcc, v26, v13, vcc
	global_load_dwordx2 v[12:13], v[12:13], off
.LBB10_10:                              ;   in Loop: Header=BB10_6 Depth=1
	s_or_b64 exec, exec, s[28:29]
.LBB10_11:                              ;   in Loop: Header=BB10_6 Depth=1
	s_or_b64 exec, exec, s[18:19]
	s_waitcnt vmcnt(0)
	ds_bpermute_b32 v12, v30, v12
	ds_bpermute_b32 v13, v30, v13
.LBB10_12:                              ;   in Loop: Header=BB10_6 Depth=1
	s_and_b64 vcc, exec, s[12:13]
	s_cbranch_vccz .LBB10_24
.LBB10_13:                              ;   in Loop: Header=BB10_6 Depth=1
	v_mov_b32_e32 v15, 0
	v_mov_b32_e32 v14, 0
	s_and_saveexec_b64 s[18:19], s[8:9]
	s_cbranch_execz .LBB10_17
; %bb.14:                               ;   in Loop: Header=BB10_6 Depth=1
	v_add_u32_e32 v5, s23, v29
	v_cmp_gt_i32_e32 vcc, s20, v5
	v_mov_b32_e32 v15, 0
	v_mov_b32_e32 v14, 0
	s_and_saveexec_b64 s[28:29], vcc
	s_cbranch_execz .LBB10_16
; %bb.15:                               ;   in Loop: Header=BB10_6 Depth=1
	v_ashrrev_i32_e32 v11, 31, v10
	v_lshlrev_b64 v[14:15], 3, v[10:11]
	v_add_co_u32_e32 v14, vcc, v27, v14
	v_addc_co_u32_e32 v15, vcc, v28, v15, vcc
	global_load_dwordx2 v[14:15], v[14:15], off
.LBB10_16:                              ;   in Loop: Header=BB10_6 Depth=1
	s_or_b64 exec, exec, s[28:29]
.LBB10_17:                              ;   in Loop: Header=BB10_6 Depth=1
	s_or_b64 exec, exec, s[18:19]
	s_cbranch_execnz .LBB10_5
	s_branch .LBB10_25
.LBB10_18:                              ;   in Loop: Header=BB10_6 Depth=1
                                        ; implicit-def: $vgpr13
	s_cbranch_execz .LBB10_12
; %bb.19:                               ;   in Loop: Header=BB10_6 Depth=1
	s_waitcnt lgkmcnt(0)
	v_mov_b32_e32 v13, 0
	v_mov_b32_e32 v12, 0
	s_and_saveexec_b64 s[18:19], s[4:5]
	s_cbranch_execz .LBB10_23
; %bb.20:                               ;   in Loop: Header=BB10_6 Depth=1
	v_add_u32_e32 v5, s23, v29
	v_cmp_gt_i32_e32 vcc, s20, v5
	v_mov_b32_e32 v13, 0
	v_mov_b32_e32 v12, 0
	s_and_saveexec_b64 s[28:29], vcc
	s_cbranch_execz .LBB10_22
; %bb.21:                               ;   in Loop: Header=BB10_6 Depth=1
	v_ashrrev_i32_e32 v5, 31, v4
	v_lshlrev_b64 v[12:13], 3, v[4:5]
	v_add_co_u32_e32 v12, vcc, v25, v12
	v_addc_co_u32_e32 v13, vcc, v26, v13, vcc
	global_load_dwordx2 v[12:13], v[12:13], off
.LBB10_22:                              ;   in Loop: Header=BB10_6 Depth=1
	s_or_b64 exec, exec, s[28:29]
.LBB10_23:                              ;   in Loop: Header=BB10_6 Depth=1
	s_or_b64 exec, exec, s[18:19]
	s_and_b64 vcc, exec, s[12:13]
	s_cbranch_vccnz .LBB10_13
.LBB10_24:                              ;   in Loop: Header=BB10_6 Depth=1
                                        ; implicit-def: $vgpr15
.LBB10_25:                              ;   in Loop: Header=BB10_6 Depth=1
	s_waitcnt vmcnt(0)
	v_mov_b32_e32 v14, 0
	v_mov_b32_e32 v15, 0
	s_and_saveexec_b64 s[18:19], s[0:1]
	s_cbranch_execz .LBB10_4
; %bb.26:                               ;   in Loop: Header=BB10_6 Depth=1
	v_add_u32_e32 v5, s23, v22
	v_cmp_gt_i32_e32 vcc, s20, v5
	v_mov_b32_e32 v15, 0
	v_mov_b32_e32 v14, 0
	s_and_saveexec_b64 s[28:29], vcc
	s_cbranch_execz .LBB10_3
; %bb.27:                               ;   in Loop: Header=BB10_6 Depth=1
	v_ashrrev_i32_e32 v9, 31, v8
	v_lshlrev_b64 v[14:15], 3, v[8:9]
	v_add_co_u32_e32 v14, vcc, v27, v14
	v_addc_co_u32_e32 v15, vcc, v28, v15, vcc
	global_load_dwordx2 v[14:15], v[14:15], off
	s_branch .LBB10_3
.LBB10_28:
	ds_read_b32 v4, v24
.LBB10_29:
	s_load_dwordx2 s[2:3], s[6:7], 0x78
	s_lshl_b64 s[0:1], s[26:27], 3
	s_waitcnt lgkmcnt(0)
	s_add_u32 s4, s24, s0
	s_addc_u32 s5, s25, s1
	v_mov_b32_e32 v8, s5
	v_mul_lo_u32 v6, v18, s2
	v_mad_u64_u32 v[6:7], s[0:1], v19, s3, v[6:7]
	v_ashrrev_i32_e32 v7, 31, v6
	v_lshlrev_b64 v[6:7], 3, v[6:7]
	v_add_co_u32_e32 v5, vcc, s4, v6
	v_addc_co_u32_e32 v6, vcc, v8, v7, vcc
	v_lshlrev_b32_e32 v8, 4, v17
	v_mbcnt_hi_u32_b32 v9, -1, v23
	v_and_b32_e32 v8, 48, v8
	v_and_b32_e32 v9, 64, v9
	v_or3_b32 v8, v8, v9, v21
	v_lshlrev_b32_e32 v8, 2, v8
	ds_bpermute_b32 v9, v8, v4
	ds_bpermute_b32 v10, v8, v14
	v_lshlrev_b32_e32 v7, 2, v22
	v_cmp_lt_i32_e32 vcc, v21, v20
	v_cmp_lt_i32_e64 s[0:1], v7, v16
	v_mul_lo_u32 v4, v21, s3
	s_and_b64 s[0:1], vcc, s[0:1]
	s_and_saveexec_b64 s[4:5], s[0:1]
	s_cbranch_execz .LBB10_31
; %bb.30:
	v_mad_u64_u32 v[18:19], s[0:1], v7, s2, v[4:5]
	v_ashrrev_i32_e32 v19, 31, v18
	v_lshlrev_b64 v[18:19], 3, v[18:19]
	v_add_co_u32_e64 v18, s[0:1], v5, v18
	v_addc_co_u32_e64 v19, s[0:1], v6, v19, s[0:1]
	global_load_dwordx2 v[20:21], v[18:19], off
	s_waitcnt lgkmcnt(0)
	v_mul_f32_e32 v11, s22, v10
	v_mul_f32_e32 v12, s22, v9
	v_fma_f32 v9, s21, v9, -v11
	v_fmac_f32_e32 v12, s21, v10
	s_waitcnt vmcnt(0)
	v_mul_f32_e32 v10, s35, v21
	v_mul_f32_e32 v11, s34, v21
	v_fma_f32 v10, s34, v20, -v10
	v_fmac_f32_e32 v11, s35, v20
	v_add_f32_e32 v10, v9, v10
	v_add_f32_e32 v11, v12, v11
	global_store_dwordx2 v[18:19], v[10:11], off
.LBB10_31:
	s_or_b64 exec, exec, s[4:5]
	s_waitcnt lgkmcnt(1)
	ds_bpermute_b32 v9, v8, v13
	s_waitcnt lgkmcnt(1)
	ds_bpermute_b32 v10, v8, v15
	v_or_b32_e32 v11, 1, v7
	v_cmp_lt_i32_e64 s[0:1], v11, v16
	s_and_b64 s[0:1], vcc, s[0:1]
	s_and_saveexec_b64 s[4:5], s[0:1]
	s_cbranch_execz .LBB10_33
; %bb.32:
	v_mad_u64_u32 v[12:13], s[0:1], v11, s2, v[4:5]
	v_ashrrev_i32_e32 v13, 31, v12
	v_lshlrev_b64 v[12:13], 3, v[12:13]
	v_add_co_u32_e64 v12, s[0:1], v5, v12
	v_addc_co_u32_e64 v13, s[0:1], v6, v13, s[0:1]
	global_load_dwordx2 v[14:15], v[12:13], off
	s_waitcnt lgkmcnt(0)
	v_mul_f32_e32 v11, s22, v10
	v_mul_f32_e32 v17, s21, v10
	v_fma_f32 v10, s21, v9, -v11
	v_fmac_f32_e32 v17, s22, v9
	s_waitcnt vmcnt(0)
	v_mul_f32_e32 v9, s35, v15
	v_mul_f32_e32 v11, s34, v15
	v_fma_f32 v9, s34, v14, -v9
	v_fmac_f32_e32 v11, s35, v14
	v_add_f32_e32 v10, v10, v9
	v_add_f32_e32 v11, v17, v11
	global_store_dwordx2 v[12:13], v[10:11], off
.LBB10_33:
	s_or_b64 exec, exec, s[4:5]
	ds_bpermute_b32 v0, v8, v0
	ds_bpermute_b32 v2, v8, v2
	s_waitcnt lgkmcnt(3)
	v_or_b32_e32 v9, 2, v7
	v_cmp_lt_i32_e64 s[0:1], v9, v16
	s_and_b64 s[0:1], vcc, s[0:1]
	s_and_saveexec_b64 s[4:5], s[0:1]
	s_cbranch_execz .LBB10_35
; %bb.34:
	s_waitcnt lgkmcnt(2)
	v_mad_u64_u32 v[10:11], s[0:1], v9, s2, v[4:5]
	v_ashrrev_i32_e32 v11, 31, v10
	v_lshlrev_b64 v[10:11], 3, v[10:11]
	v_add_co_u32_e64 v10, s[0:1], v5, v10
	v_addc_co_u32_e64 v11, s[0:1], v6, v11, s[0:1]
	global_load_dwordx2 v[12:13], v[10:11], off
	s_waitcnt lgkmcnt(0)
	v_mul_f32_e32 v9, s22, v2
	v_mul_f32_e32 v2, s21, v2
	v_fma_f32 v9, s21, v0, -v9
	v_fmac_f32_e32 v2, s22, v0
	s_waitcnt vmcnt(0)
	v_mul_f32_e32 v0, s35, v13
	v_mul_f32_e32 v13, s34, v13
	v_fma_f32 v0, s34, v12, -v0
	v_fmac_f32_e32 v13, s35, v12
	v_add_f32_e32 v12, v9, v0
	v_add_f32_e32 v13, v2, v13
	global_store_dwordx2 v[10:11], v[12:13], off
.LBB10_35:
	s_or_b64 exec, exec, s[4:5]
	s_waitcnt lgkmcnt(1)
	ds_bpermute_b32 v0, v8, v1
	ds_bpermute_b32 v1, v8, v3
	s_waitcnt lgkmcnt(2)
	v_or_b32_e32 v2, 3, v7
	v_cmp_lt_i32_e64 s[0:1], v2, v16
	s_and_b64 s[0:1], vcc, s[0:1]
	s_and_b64 exec, exec, s[0:1]
	s_cbranch_execz .LBB10_37
; %bb.36:
	v_mad_u64_u32 v[2:3], s[0:1], v2, s2, v[4:5]
	v_ashrrev_i32_e32 v3, 31, v2
	v_lshlrev_b64 v[2:3], 3, v[2:3]
	v_add_co_u32_e32 v2, vcc, v5, v2
	v_addc_co_u32_e32 v3, vcc, v6, v3, vcc
	global_load_dwordx2 v[4:5], v[2:3], off
	s_waitcnt lgkmcnt(0)
	v_mul_f32_e32 v6, s22, v1
	v_mul_f32_e32 v1, s21, v1
	v_fma_f32 v6, s21, v0, -v6
	v_fmac_f32_e32 v1, s22, v0
	s_waitcnt vmcnt(0)
	v_mul_f32_e32 v0, s35, v5
	v_mul_f32_e32 v5, s34, v5
	v_fma_f32 v0, s34, v4, -v0
	v_fmac_f32_e32 v5, s35, v4
	v_add_f32_e32 v0, v6, v0
	v_add_f32_e32 v1, v1, v5
	global_store_dwordx2 v[2:3], v[0:1], off
.LBB10_37:
	s_endpgm
	.section	.rodata,"a",@progbits
	.p2align	6, 0x0
	.amdhsa_kernel _ZN9rocsolver6v33100L16mfma_gemm_kernelI19rocblas_complex_numIfEiS3_PS3_PKS4_S6_EEv18rocblas_operation_S7_T0_S8_S8_T1_T2_lS8_S8_lT3_lS8_S8_lS9_T4_lS8_S8_l
		.amdhsa_group_segment_fixed_size 20480
		.amdhsa_private_segment_fixed_size 0
		.amdhsa_kernarg_size 392
		.amdhsa_user_sgpr_count 8
		.amdhsa_user_sgpr_private_segment_buffer 1
		.amdhsa_user_sgpr_dispatch_ptr 1
		.amdhsa_user_sgpr_queue_ptr 0
		.amdhsa_user_sgpr_kernarg_segment_ptr 1
		.amdhsa_user_sgpr_dispatch_id 0
		.amdhsa_user_sgpr_flat_scratch_init 0
		.amdhsa_user_sgpr_kernarg_preload_length 0
		.amdhsa_user_sgpr_kernarg_preload_offset 0
		.amdhsa_user_sgpr_private_segment_size 0
		.amdhsa_uses_dynamic_stack 0
		.amdhsa_system_sgpr_private_segment_wavefront_offset 0
		.amdhsa_system_sgpr_workgroup_id_x 1
		.amdhsa_system_sgpr_workgroup_id_y 1
		.amdhsa_system_sgpr_workgroup_id_z 1
		.amdhsa_system_sgpr_workgroup_info 0
		.amdhsa_system_vgpr_workitem_id 2
		.amdhsa_next_free_vgpr 50
		.amdhsa_next_free_sgpr 42
		.amdhsa_accum_offset 52
		.amdhsa_reserve_vcc 1
		.amdhsa_reserve_flat_scratch 0
		.amdhsa_float_round_mode_32 0
		.amdhsa_float_round_mode_16_64 0
		.amdhsa_float_denorm_mode_32 3
		.amdhsa_float_denorm_mode_16_64 3
		.amdhsa_dx10_clamp 1
		.amdhsa_ieee_mode 1
		.amdhsa_fp16_overflow 0
		.amdhsa_tg_split 0
		.amdhsa_exception_fp_ieee_invalid_op 0
		.amdhsa_exception_fp_denorm_src 0
		.amdhsa_exception_fp_ieee_div_zero 0
		.amdhsa_exception_fp_ieee_overflow 0
		.amdhsa_exception_fp_ieee_underflow 0
		.amdhsa_exception_fp_ieee_inexact 0
		.amdhsa_exception_int_div_zero 0
	.end_amdhsa_kernel
	.section	.text._ZN9rocsolver6v33100L16mfma_gemm_kernelI19rocblas_complex_numIfEiS3_PS3_PKS4_S6_EEv18rocblas_operation_S7_T0_S8_S8_T1_T2_lS8_S8_lT3_lS8_S8_lS9_T4_lS8_S8_l,"axG",@progbits,_ZN9rocsolver6v33100L16mfma_gemm_kernelI19rocblas_complex_numIfEiS3_PS3_PKS4_S6_EEv18rocblas_operation_S7_T0_S8_S8_T1_T2_lS8_S8_lT3_lS8_S8_lS9_T4_lS8_S8_l,comdat
.Lfunc_end10:
	.size	_ZN9rocsolver6v33100L16mfma_gemm_kernelI19rocblas_complex_numIfEiS3_PS3_PKS4_S6_EEv18rocblas_operation_S7_T0_S8_S8_T1_T2_lS8_S8_lT3_lS8_S8_lS9_T4_lS8_S8_l, .Lfunc_end10-_ZN9rocsolver6v33100L16mfma_gemm_kernelI19rocblas_complex_numIfEiS3_PS3_PKS4_S6_EEv18rocblas_operation_S7_T0_S8_S8_T1_T2_lS8_S8_lT3_lS8_S8_lS9_T4_lS8_S8_l
                                        ; -- End function
	.section	.AMDGPU.csdata,"",@progbits
; Kernel info:
; codeLenInByte = 2124
; NumSgprs: 46
; NumVgprs: 50
; NumAgprs: 0
; TotalNumVgprs: 50
; ScratchSize: 0
; MemoryBound: 0
; FloatMode: 240
; IeeeMode: 1
; LDSByteSize: 20480 bytes/workgroup (compile time only)
; SGPRBlocks: 5
; VGPRBlocks: 6
; NumSGPRsForWavesPerEU: 46
; NumVGPRsForWavesPerEU: 50
; AccumOffset: 52
; Occupancy: 8
; WaveLimiterHint : 1
; COMPUTE_PGM_RSRC2:SCRATCH_EN: 0
; COMPUTE_PGM_RSRC2:USER_SGPR: 8
; COMPUTE_PGM_RSRC2:TRAP_HANDLER: 0
; COMPUTE_PGM_RSRC2:TGID_X_EN: 1
; COMPUTE_PGM_RSRC2:TGID_Y_EN: 1
; COMPUTE_PGM_RSRC2:TGID_Z_EN: 1
; COMPUTE_PGM_RSRC2:TIDIG_COMP_CNT: 2
; COMPUTE_PGM_RSRC3_GFX90A:ACCUM_OFFSET: 12
; COMPUTE_PGM_RSRC3_GFX90A:TG_SPLIT: 0
	.section	.text._ZN9rocsolver6v33100L11gemm_kernelI19rocblas_complex_numIfEiPKS3_PS3_PKS6_S8_EEvT0_S9_S9_T1_bT2_lS9_S9_lbT3_lS9_S9_lSA_T4_lS9_S9_l,"axG",@progbits,_ZN9rocsolver6v33100L11gemm_kernelI19rocblas_complex_numIfEiPKS3_PS3_PKS6_S8_EEvT0_S9_S9_T1_bT2_lS9_S9_lbT3_lS9_S9_lSA_T4_lS9_S9_l,comdat
	.globl	_ZN9rocsolver6v33100L11gemm_kernelI19rocblas_complex_numIfEiPKS3_PS3_PKS6_S8_EEvT0_S9_S9_T1_bT2_lS9_S9_lbT3_lS9_S9_lSA_T4_lS9_S9_l ; -- Begin function _ZN9rocsolver6v33100L11gemm_kernelI19rocblas_complex_numIfEiPKS3_PS3_PKS6_S8_EEvT0_S9_S9_T1_bT2_lS9_S9_lbT3_lS9_S9_lSA_T4_lS9_S9_l
	.p2align	8
	.type	_ZN9rocsolver6v33100L11gemm_kernelI19rocblas_complex_numIfEiPKS3_PS3_PKS6_S8_EEvT0_S9_S9_T1_bT2_lS9_S9_lbT3_lS9_S9_lSA_T4_lS9_S9_l,@function
_ZN9rocsolver6v33100L11gemm_kernelI19rocblas_complex_numIfEiPKS3_PS3_PKS6_S8_EEvT0_S9_S9_T1_bT2_lS9_S9_lbT3_lS9_S9_lSA_T4_lS9_S9_l: ; @_ZN9rocsolver6v33100L11gemm_kernelI19rocblas_complex_numIfEiPKS3_PS3_PKS6_S8_EEvT0_S9_S9_T1_bT2_lS9_S9_lbT3_lS9_S9_lSA_T4_lS9_S9_l
; %bb.0:
	s_load_dword s9, s[4:5], 0x9c
	s_load_dwordx4 s[0:3], s[4:5], 0x0
	v_and_b32_e32 v1, 0x3ff, v0
	v_bfe_u32 v0, v0, 10, 10
	s_waitcnt lgkmcnt(0)
	s_lshr_b32 s3, s9, 16
	s_and_b32 s9, s9, 0xffff
	s_mul_i32 s6, s6, s9
	s_mul_i32 s7, s7, s3
	v_add_u32_e32 v8, s6, v1
	v_add_u32_e32 v9, s7, v0
	v_cmp_gt_i32_e32 vcc, s0, v8
	v_cmp_gt_i32_e64 s[0:1], s1, v9
	s_and_b64 s[0:1], vcc, s[0:1]
	s_and_saveexec_b64 s[6:7], s[0:1]
	s_cbranch_execz .LBB11_9
; %bb.1:
	s_load_dwordx2 s[16:17], s[4:5], 0x10
	s_load_dwordx4 s[12:15], s[4:5], 0x68
	s_load_dwordx2 s[10:11], s[4:5], 0x78
	s_ashr_i32 s9, s8, 31
	s_lshl_b64 s[22:23], s[8:9], 3
	v_mov_b32_e32 v10, 0
	s_waitcnt lgkmcnt(0)
	s_load_dwordx2 s[6:7], s[16:17], 0x0
	s_load_dwordx2 s[0:1], s[12:13], 0x0
	s_add_u32 s12, s14, s22
	s_addc_u32 s13, s15, s23
	s_load_dwordx2 s[20:21], s[12:13], 0x0
	s_cmp_lt_i32 s2, 1
	v_mov_b32_e32 v11, 0
	s_cbranch_scc1 .LBB11_8
; %bb.2:
	s_load_dwordx4 s[28:31], s[4:5], 0x48
	s_load_dword s3, s[4:5], 0x40
	s_load_dword s24, s[4:5], 0x18
	s_load_dwordx8 s[12:19], s[4:5], 0x20
	s_load_dwordx2 s[26:27], s[4:5], 0x58
	s_waitcnt lgkmcnt(0)
	s_add_u32 s22, s28, s22
	s_addc_u32 s23, s29, s23
	s_bitcmp1_b32 s24, 0
	s_load_dwordx2 s[28:29], s[22:23], 0x0
	s_cselect_b64 s[22:23], -1, 0
	s_xor_b64 s[22:23], s[22:23], -1
	s_bitcmp1_b32 s3, 0
	s_mul_i32 s3, s8, s19
	s_mul_hi_u32 s19, s8, s18
	s_cselect_b64 s[24:25], -1, 0
	s_add_i32 s3, s19, s3
	s_mul_i32 s9, s9, s18
	s_add_i32 s9, s3, s9
	s_mul_i32 s8, s8, s18
	s_lshl_b64 s[8:9], s[8:9], 3
	s_add_u32 s3, s12, s8
	s_addc_u32 s12, s13, s9
	s_lshl_b64 s[8:9], s[14:15], 3
	s_add_u32 s3, s3, s8
	s_addc_u32 s13, s12, s9
	s_lshl_b64 s[8:9], s[30:31], 3
	s_waitcnt lgkmcnt(0)
	s_add_u32 s12, s28, s8
	s_addc_u32 s8, s29, s9
	v_mul_lo_u32 v0, v8, s16
	v_mul_lo_u32 v2, v9, s27
	v_mov_b32_e32 v10, 0
	v_mov_b32_e32 v12, s13
	;; [unrolled: 1-line block ×4, first 2 shown]
	s_branch .LBB11_4
.LBB11_3:                               ;   in Loop: Header=BB11_4 Depth=1
	v_ashrrev_i32_e32 v3, 31, v2
	v_lshlrev_b64 v[6:7], 3, v[2:3]
	v_add_co_u32_e32 v6, vcc, s12, v6
	v_addc_co_u32_e32 v7, vcc, v13, v7, vcc
	global_load_dwordx2 v[6:7], v[6:7], off
	s_add_i32 s2, s2, -1
	v_add_u32_e32 v2, s26, v2
	s_cmp_eq_u32 s2, 0
	v_add_u32_e32 v0, s17, v0
	s_waitcnt vmcnt(0)
	v_cndmask_b32_e64 v1, v7, -v7, s[24:25]
	v_mul_f32_e32 v3, v6, v5
	v_mul_f32_e32 v5, v1, v5
	v_fmac_f32_e32 v3, v1, v4
	v_fma_f32 v1, v6, v4, -v5
	v_add_f32_e32 v10, v10, v3
	v_add_f32_e32 v11, v11, v1
	s_cbranch_scc1 .LBB11_8
.LBB11_4:                               ; =>This Inner Loop Header: Depth=1
	v_ashrrev_i32_e32 v1, 31, v0
	v_lshlrev_b64 v[4:5], 3, v[0:1]
	v_add_co_u32_e32 v6, vcc, s3, v4
	v_addc_co_u32_e32 v7, vcc, v12, v5, vcc
	s_and_b64 vcc, exec, s[22:23]
	s_cbranch_vccz .LBB11_6
; %bb.5:                                ;   in Loop: Header=BB11_4 Depth=1
	global_load_dwordx2 v[4:5], v[6:7], off
	s_cbranch_execnz .LBB11_3
	s_branch .LBB11_7
.LBB11_6:                               ;   in Loop: Header=BB11_4 Depth=1
                                        ; implicit-def: $vgpr5
.LBB11_7:                               ;   in Loop: Header=BB11_4 Depth=1
	global_load_dwordx2 v[4:5], v[6:7], off
	s_waitcnt vmcnt(0)
	v_xor_b32_e32 v5, 0x80000000, v5
	s_branch .LBB11_3
.LBB11_8:
	s_load_dwordx2 s[2:3], s[4:5], 0x80
	s_lshl_b64 s[4:5], s[10:11], 3
	s_waitcnt lgkmcnt(0)
	s_add_u32 s4, s20, s4
	s_addc_u32 s5, s21, s5
	v_mov_b32_e32 v2, s5
	v_mul_lo_u32 v0, v8, s2
	v_mad_u64_u32 v[0:1], s[2:3], v9, s3, v[0:1]
	v_ashrrev_i32_e32 v1, 31, v0
	v_lshlrev_b64 v[0:1], 3, v[0:1]
	v_add_co_u32_e32 v0, vcc, s4, v0
	v_addc_co_u32_e32 v1, vcc, v2, v1, vcc
	global_load_dwordx2 v[2:3], v[0:1], off
	v_mul_f32_e32 v4, s7, v10
	v_mul_f32_e32 v5, s6, v10
	v_fma_f32 v4, s6, v11, -v4
	v_fmac_f32_e32 v5, s7, v11
	s_waitcnt vmcnt(0)
	v_mul_f32_e32 v6, s1, v3
	v_mul_f32_e32 v3, s0, v3
	v_fma_f32 v6, s0, v2, -v6
	v_fmac_f32_e32 v3, s1, v2
	v_add_f32_e32 v2, v4, v6
	v_add_f32_e32 v3, v5, v3
	global_store_dwordx2 v[0:1], v[2:3], off
.LBB11_9:
	s_endpgm
	.section	.rodata,"a",@progbits
	.p2align	6, 0x0
	.amdhsa_kernel _ZN9rocsolver6v33100L11gemm_kernelI19rocblas_complex_numIfEiPKS3_PS3_PKS6_S8_EEvT0_S9_S9_T1_bT2_lS9_S9_lbT3_lS9_S9_lSA_T4_lS9_S9_l
		.amdhsa_group_segment_fixed_size 0
		.amdhsa_private_segment_fixed_size 0
		.amdhsa_kernarg_size 400
		.amdhsa_user_sgpr_count 6
		.amdhsa_user_sgpr_private_segment_buffer 1
		.amdhsa_user_sgpr_dispatch_ptr 0
		.amdhsa_user_sgpr_queue_ptr 0
		.amdhsa_user_sgpr_kernarg_segment_ptr 1
		.amdhsa_user_sgpr_dispatch_id 0
		.amdhsa_user_sgpr_flat_scratch_init 0
		.amdhsa_user_sgpr_kernarg_preload_length 0
		.amdhsa_user_sgpr_kernarg_preload_offset 0
		.amdhsa_user_sgpr_private_segment_size 0
		.amdhsa_uses_dynamic_stack 0
		.amdhsa_system_sgpr_private_segment_wavefront_offset 0
		.amdhsa_system_sgpr_workgroup_id_x 1
		.amdhsa_system_sgpr_workgroup_id_y 1
		.amdhsa_system_sgpr_workgroup_id_z 1
		.amdhsa_system_sgpr_workgroup_info 0
		.amdhsa_system_vgpr_workitem_id 1
		.amdhsa_next_free_vgpr 14
		.amdhsa_next_free_sgpr 32
		.amdhsa_accum_offset 16
		.amdhsa_reserve_vcc 1
		.amdhsa_reserve_flat_scratch 0
		.amdhsa_float_round_mode_32 0
		.amdhsa_float_round_mode_16_64 0
		.amdhsa_float_denorm_mode_32 3
		.amdhsa_float_denorm_mode_16_64 3
		.amdhsa_dx10_clamp 1
		.amdhsa_ieee_mode 1
		.amdhsa_fp16_overflow 0
		.amdhsa_tg_split 0
		.amdhsa_exception_fp_ieee_invalid_op 0
		.amdhsa_exception_fp_denorm_src 0
		.amdhsa_exception_fp_ieee_div_zero 0
		.amdhsa_exception_fp_ieee_overflow 0
		.amdhsa_exception_fp_ieee_underflow 0
		.amdhsa_exception_fp_ieee_inexact 0
		.amdhsa_exception_int_div_zero 0
	.end_amdhsa_kernel
	.section	.text._ZN9rocsolver6v33100L11gemm_kernelI19rocblas_complex_numIfEiPKS3_PS3_PKS6_S8_EEvT0_S9_S9_T1_bT2_lS9_S9_lbT3_lS9_S9_lSA_T4_lS9_S9_l,"axG",@progbits,_ZN9rocsolver6v33100L11gemm_kernelI19rocblas_complex_numIfEiPKS3_PS3_PKS6_S8_EEvT0_S9_S9_T1_bT2_lS9_S9_lbT3_lS9_S9_lSA_T4_lS9_S9_l,comdat
.Lfunc_end11:
	.size	_ZN9rocsolver6v33100L11gemm_kernelI19rocblas_complex_numIfEiPKS3_PS3_PKS6_S8_EEvT0_S9_S9_T1_bT2_lS9_S9_lbT3_lS9_S9_lSA_T4_lS9_S9_l, .Lfunc_end11-_ZN9rocsolver6v33100L11gemm_kernelI19rocblas_complex_numIfEiPKS3_PS3_PKS6_S8_EEvT0_S9_S9_T1_bT2_lS9_S9_lbT3_lS9_S9_lSA_T4_lS9_S9_l
                                        ; -- End function
	.section	.AMDGPU.csdata,"",@progbits
; Kernel info:
; codeLenInByte = 644
; NumSgprs: 36
; NumVgprs: 14
; NumAgprs: 0
; TotalNumVgprs: 14
; ScratchSize: 0
; MemoryBound: 0
; FloatMode: 240
; IeeeMode: 1
; LDSByteSize: 0 bytes/workgroup (compile time only)
; SGPRBlocks: 4
; VGPRBlocks: 1
; NumSGPRsForWavesPerEU: 36
; NumVGPRsForWavesPerEU: 14
; AccumOffset: 16
; Occupancy: 8
; WaveLimiterHint : 1
; COMPUTE_PGM_RSRC2:SCRATCH_EN: 0
; COMPUTE_PGM_RSRC2:USER_SGPR: 6
; COMPUTE_PGM_RSRC2:TRAP_HANDLER: 0
; COMPUTE_PGM_RSRC2:TGID_X_EN: 1
; COMPUTE_PGM_RSRC2:TGID_Y_EN: 1
; COMPUTE_PGM_RSRC2:TGID_Z_EN: 1
; COMPUTE_PGM_RSRC2:TIDIG_COMP_CNT: 1
; COMPUTE_PGM_RSRC3_GFX90A:ACCUM_OFFSET: 3
; COMPUTE_PGM_RSRC3_GFX90A:TG_SPLIT: 0
	.section	.text._ZN9rocsolver6v33100L11gemm_kernelI19rocblas_complex_numIfEiS3_PS3_PKS4_S6_EEvT0_S7_S7_T1_bT2_lS7_S7_lbT3_lS7_S7_lS8_T4_lS7_S7_l,"axG",@progbits,_ZN9rocsolver6v33100L11gemm_kernelI19rocblas_complex_numIfEiS3_PS3_PKS4_S6_EEvT0_S7_S7_T1_bT2_lS7_S7_lbT3_lS7_S7_lS8_T4_lS7_S7_l,comdat
	.globl	_ZN9rocsolver6v33100L11gemm_kernelI19rocblas_complex_numIfEiS3_PS3_PKS4_S6_EEvT0_S7_S7_T1_bT2_lS7_S7_lbT3_lS7_S7_lS8_T4_lS7_S7_l ; -- Begin function _ZN9rocsolver6v33100L11gemm_kernelI19rocblas_complex_numIfEiS3_PS3_PKS4_S6_EEvT0_S7_S7_T1_bT2_lS7_S7_lbT3_lS7_S7_lS8_T4_lS7_S7_l
	.p2align	8
	.type	_ZN9rocsolver6v33100L11gemm_kernelI19rocblas_complex_numIfEiS3_PS3_PKS4_S6_EEvT0_S7_S7_T1_bT2_lS7_S7_lbT3_lS7_S7_lS8_T4_lS7_S7_l,@function
_ZN9rocsolver6v33100L11gemm_kernelI19rocblas_complex_numIfEiS3_PS3_PKS4_S6_EEvT0_S7_S7_T1_bT2_lS7_S7_lbT3_lS7_S7_lS8_T4_lS7_S7_l: ; @_ZN9rocsolver6v33100L11gemm_kernelI19rocblas_complex_numIfEiS3_PS3_PKS4_S6_EEvT0_S7_S7_T1_bT2_lS7_S7_lbT3_lS7_S7_lS8_T4_lS7_S7_l
; %bb.0:
	s_load_dword s9, s[4:5], 0x94
	s_load_dwordx4 s[0:3], s[4:5], 0x0
	v_and_b32_e32 v1, 0x3ff, v0
	v_bfe_u32 v0, v0, 10, 10
	s_waitcnt lgkmcnt(0)
	s_lshr_b32 s10, s9, 16
	s_and_b32 s9, s9, 0xffff
	s_mul_i32 s6, s6, s9
	s_mul_i32 s7, s7, s10
	v_add_u32_e32 v8, s6, v1
	v_add_u32_e32 v9, s7, v0
	v_cmp_gt_i32_e32 vcc, s0, v8
	v_cmp_gt_i32_e64 s[0:1], s1, v9
	s_and_b64 s[0:1], vcc, s[0:1]
	s_and_saveexec_b64 s[6:7], s[0:1]
	s_cbranch_execz .LBB12_9
; %bb.1:
	s_load_dwordx4 s[20:23], s[4:5], 0x68
	s_load_dwordx2 s[6:7], s[4:5], 0x10
	s_load_dwordx2 s[0:1], s[4:5], 0x60
	s_ashr_i32 s9, s8, 31
	s_lshl_b64 s[24:25], s[8:9], 3
	s_waitcnt lgkmcnt(0)
	s_add_u32 s10, s20, s24
	s_addc_u32 s11, s21, s25
	s_load_dwordx2 s[10:11], s[10:11], 0x0
	s_cmp_lt_i32 s2, 1
	v_mov_b32_e32 v10, 0
	v_mov_b32_e32 v11, 0
	s_cbranch_scc1 .LBB12_8
; %bb.2:
	s_load_dwordx4 s[28:31], s[4:5], 0x40
	s_load_dword s26, s[4:5], 0x38
	s_load_dwordx8 s[12:19], s[4:5], 0x18
	s_load_dwordx2 s[20:21], s[4:5], 0x50
	v_mov_b32_e32 v10, 0
	s_waitcnt lgkmcnt(0)
	s_add_u32 s24, s28, s24
	s_addc_u32 s25, s29, s25
	s_bitcmp1_b32 s7, 0
	s_load_dwordx2 s[28:29], s[24:25], 0x0
	s_cselect_b64 s[24:25], -1, 0
	s_xor_b64 s[24:25], s[24:25], -1
	s_bitcmp1_b32 s26, 0
	s_mul_i32 s7, s8, s19
	s_mul_hi_u32 s19, s8, s18
	s_cselect_b64 s[26:27], -1, 0
	s_add_i32 s7, s19, s7
	s_mul_i32 s9, s9, s18
	s_add_i32 s9, s7, s9
	s_mul_i32 s8, s8, s18
	s_lshl_b64 s[8:9], s[8:9], 3
	s_add_u32 s7, s12, s8
	s_addc_u32 s12, s13, s9
	s_lshl_b64 s[8:9], s[14:15], 3
	s_add_u32 s7, s7, s8
	s_addc_u32 s13, s12, s9
	s_lshl_b64 s[8:9], s[30:31], 3
	s_waitcnt lgkmcnt(0)
	s_add_u32 s12, s28, s8
	s_addc_u32 s8, s29, s9
	v_mul_lo_u32 v0, v8, s16
	v_mul_lo_u32 v2, v9, s21
	v_mov_b32_e32 v12, s13
	v_mov_b32_e32 v13, s8
	;; [unrolled: 1-line block ×3, first 2 shown]
	s_branch .LBB12_4
.LBB12_3:                               ;   in Loop: Header=BB12_4 Depth=1
	v_ashrrev_i32_e32 v3, 31, v2
	v_lshlrev_b64 v[6:7], 3, v[2:3]
	v_add_co_u32_e32 v6, vcc, s12, v6
	v_addc_co_u32_e32 v7, vcc, v13, v7, vcc
	global_load_dwordx2 v[6:7], v[6:7], off
	s_add_i32 s2, s2, -1
	v_add_u32_e32 v2, s20, v2
	s_cmp_eq_u32 s2, 0
	v_add_u32_e32 v0, s17, v0
	s_waitcnt vmcnt(0)
	v_cndmask_b32_e64 v1, v7, -v7, s[26:27]
	v_mul_f32_e32 v3, v6, v5
	v_mul_f32_e32 v5, v1, v5
	v_fmac_f32_e32 v3, v1, v4
	v_fma_f32 v1, v6, v4, -v5
	v_add_f32_e32 v10, v10, v3
	v_add_f32_e32 v11, v11, v1
	s_cbranch_scc1 .LBB12_8
.LBB12_4:                               ; =>This Inner Loop Header: Depth=1
	v_ashrrev_i32_e32 v1, 31, v0
	v_lshlrev_b64 v[4:5], 3, v[0:1]
	v_add_co_u32_e32 v6, vcc, s7, v4
	v_addc_co_u32_e32 v7, vcc, v12, v5, vcc
	s_and_b64 vcc, exec, s[24:25]
	s_cbranch_vccz .LBB12_6
; %bb.5:                                ;   in Loop: Header=BB12_4 Depth=1
	global_load_dwordx2 v[4:5], v[6:7], off
	s_cbranch_execnz .LBB12_3
	s_branch .LBB12_7
.LBB12_6:                               ;   in Loop: Header=BB12_4 Depth=1
                                        ; implicit-def: $vgpr5
.LBB12_7:                               ;   in Loop: Header=BB12_4 Depth=1
	global_load_dwordx2 v[4:5], v[6:7], off
	s_waitcnt vmcnt(0)
	v_xor_b32_e32 v5, 0x80000000, v5
	s_branch .LBB12_3
.LBB12_8:
	s_load_dwordx2 s[4:5], s[4:5], 0x78
	s_lshl_b64 s[8:9], s[22:23], 3
	s_waitcnt lgkmcnt(0)
	s_add_u32 s2, s10, s8
	s_addc_u32 s7, s11, s9
	v_mov_b32_e32 v2, s7
	v_mul_lo_u32 v0, v8, s4
	v_mad_u64_u32 v[0:1], s[4:5], v9, s5, v[0:1]
	v_ashrrev_i32_e32 v1, 31, v0
	v_lshlrev_b64 v[0:1], 3, v[0:1]
	v_add_co_u32_e32 v0, vcc, s2, v0
	v_addc_co_u32_e32 v1, vcc, v2, v1, vcc
	global_load_dwordx2 v[2:3], v[0:1], off
	v_mul_f32_e32 v4, s6, v10
	v_mul_f32_e32 v5, s3, v10
	v_fma_f32 v4, s3, v11, -v4
	v_fmac_f32_e32 v5, s6, v11
	s_waitcnt vmcnt(0)
	v_mul_f32_e32 v6, s1, v3
	v_mul_f32_e32 v3, s0, v3
	v_fma_f32 v6, s0, v2, -v6
	v_fmac_f32_e32 v3, s1, v2
	v_add_f32_e32 v2, v4, v6
	v_add_f32_e32 v3, v5, v3
	global_store_dwordx2 v[0:1], v[2:3], off
.LBB12_9:
	s_endpgm
	.section	.rodata,"a",@progbits
	.p2align	6, 0x0
	.amdhsa_kernel _ZN9rocsolver6v33100L11gemm_kernelI19rocblas_complex_numIfEiS3_PS3_PKS4_S6_EEvT0_S7_S7_T1_bT2_lS7_S7_lbT3_lS7_S7_lS8_T4_lS7_S7_l
		.amdhsa_group_segment_fixed_size 0
		.amdhsa_private_segment_fixed_size 0
		.amdhsa_kernarg_size 392
		.amdhsa_user_sgpr_count 6
		.amdhsa_user_sgpr_private_segment_buffer 1
		.amdhsa_user_sgpr_dispatch_ptr 0
		.amdhsa_user_sgpr_queue_ptr 0
		.amdhsa_user_sgpr_kernarg_segment_ptr 1
		.amdhsa_user_sgpr_dispatch_id 0
		.amdhsa_user_sgpr_flat_scratch_init 0
		.amdhsa_user_sgpr_kernarg_preload_length 0
		.amdhsa_user_sgpr_kernarg_preload_offset 0
		.amdhsa_user_sgpr_private_segment_size 0
		.amdhsa_uses_dynamic_stack 0
		.amdhsa_system_sgpr_private_segment_wavefront_offset 0
		.amdhsa_system_sgpr_workgroup_id_x 1
		.amdhsa_system_sgpr_workgroup_id_y 1
		.amdhsa_system_sgpr_workgroup_id_z 1
		.amdhsa_system_sgpr_workgroup_info 0
		.amdhsa_system_vgpr_workitem_id 1
		.amdhsa_next_free_vgpr 14
		.amdhsa_next_free_sgpr 32
		.amdhsa_accum_offset 16
		.amdhsa_reserve_vcc 1
		.amdhsa_reserve_flat_scratch 0
		.amdhsa_float_round_mode_32 0
		.amdhsa_float_round_mode_16_64 0
		.amdhsa_float_denorm_mode_32 3
		.amdhsa_float_denorm_mode_16_64 3
		.amdhsa_dx10_clamp 1
		.amdhsa_ieee_mode 1
		.amdhsa_fp16_overflow 0
		.amdhsa_tg_split 0
		.amdhsa_exception_fp_ieee_invalid_op 0
		.amdhsa_exception_fp_denorm_src 0
		.amdhsa_exception_fp_ieee_div_zero 0
		.amdhsa_exception_fp_ieee_overflow 0
		.amdhsa_exception_fp_ieee_underflow 0
		.amdhsa_exception_fp_ieee_inexact 0
		.amdhsa_exception_int_div_zero 0
	.end_amdhsa_kernel
	.section	.text._ZN9rocsolver6v33100L11gemm_kernelI19rocblas_complex_numIfEiS3_PS3_PKS4_S6_EEvT0_S7_S7_T1_bT2_lS7_S7_lbT3_lS7_S7_lS8_T4_lS7_S7_l,"axG",@progbits,_ZN9rocsolver6v33100L11gemm_kernelI19rocblas_complex_numIfEiS3_PS3_PKS4_S6_EEvT0_S7_S7_T1_bT2_lS7_S7_lbT3_lS7_S7_lS8_T4_lS7_S7_l,comdat
.Lfunc_end12:
	.size	_ZN9rocsolver6v33100L11gemm_kernelI19rocblas_complex_numIfEiS3_PS3_PKS4_S6_EEvT0_S7_S7_T1_bT2_lS7_S7_lbT3_lS7_S7_lS8_T4_lS7_S7_l, .Lfunc_end12-_ZN9rocsolver6v33100L11gemm_kernelI19rocblas_complex_numIfEiS3_PS3_PKS4_S6_EEvT0_S7_S7_T1_bT2_lS7_S7_lbT3_lS7_S7_lS8_T4_lS7_S7_l
                                        ; -- End function
	.section	.AMDGPU.csdata,"",@progbits
; Kernel info:
; codeLenInByte = 620
; NumSgprs: 36
; NumVgprs: 14
; NumAgprs: 0
; TotalNumVgprs: 14
; ScratchSize: 0
; MemoryBound: 0
; FloatMode: 240
; IeeeMode: 1
; LDSByteSize: 0 bytes/workgroup (compile time only)
; SGPRBlocks: 4
; VGPRBlocks: 1
; NumSGPRsForWavesPerEU: 36
; NumVGPRsForWavesPerEU: 14
; AccumOffset: 16
; Occupancy: 8
; WaveLimiterHint : 1
; COMPUTE_PGM_RSRC2:SCRATCH_EN: 0
; COMPUTE_PGM_RSRC2:USER_SGPR: 6
; COMPUTE_PGM_RSRC2:TRAP_HANDLER: 0
; COMPUTE_PGM_RSRC2:TGID_X_EN: 1
; COMPUTE_PGM_RSRC2:TGID_Y_EN: 1
; COMPUTE_PGM_RSRC2:TGID_Z_EN: 1
; COMPUTE_PGM_RSRC2:TIDIG_COMP_CNT: 1
; COMPUTE_PGM_RSRC3_GFX90A:ACCUM_OFFSET: 3
; COMPUTE_PGM_RSRC3_GFX90A:TG_SPLIT: 0
	.section	.text._ZN9rocsolver6v33100L16mfma_gemm_kernelI19rocblas_complex_numIfEiPKS3_PKPS3_S6_S8_EEv18rocblas_operation_S9_T0_SA_SA_T1_T2_lSA_SA_lT3_lSA_SA_lSB_T4_lSA_SA_l,"axG",@progbits,_ZN9rocsolver6v33100L16mfma_gemm_kernelI19rocblas_complex_numIfEiPKS3_PKPS3_S6_S8_EEv18rocblas_operation_S9_T0_SA_SA_T1_T2_lSA_SA_lT3_lSA_SA_lSB_T4_lSA_SA_l,comdat
	.globl	_ZN9rocsolver6v33100L16mfma_gemm_kernelI19rocblas_complex_numIfEiPKS3_PKPS3_S6_S8_EEv18rocblas_operation_S9_T0_SA_SA_T1_T2_lSA_SA_lT3_lSA_SA_lSB_T4_lSA_SA_l ; -- Begin function _ZN9rocsolver6v33100L16mfma_gemm_kernelI19rocblas_complex_numIfEiPKS3_PKPS3_S6_S8_EEv18rocblas_operation_S9_T0_SA_SA_T1_T2_lSA_SA_lT3_lSA_SA_lSB_T4_lSA_SA_l
	.p2align	8
	.type	_ZN9rocsolver6v33100L16mfma_gemm_kernelI19rocblas_complex_numIfEiPKS3_PKPS3_S6_S8_EEv18rocblas_operation_S9_T0_SA_SA_T1_T2_lSA_SA_lT3_lSA_SA_lSB_T4_lSA_SA_l,@function
_ZN9rocsolver6v33100L16mfma_gemm_kernelI19rocblas_complex_numIfEiPKS3_PKPS3_S6_S8_EEv18rocblas_operation_S9_T0_SA_SA_T1_T2_lSA_SA_lT3_lSA_SA_lSB_T4_lSA_SA_l: ; @_ZN9rocsolver6v33100L16mfma_gemm_kernelI19rocblas_complex_numIfEiPKS3_PKPS3_S6_S8_EEv18rocblas_operation_S9_T0_SA_SA_T1_T2_lSA_SA_lT3_lSA_SA_lSB_T4_lSA_SA_l
; %bb.0:
	s_load_dword s0, s[6:7], 0x94
	s_load_dwordx4 s[20:23], s[6:7], 0x0
	v_and_b32_e32 v17, 0x3ff, v0
	v_bfe_u32 v1, v0, 10, 10
	v_lshrrev_b32_e32 v2, 6, v17
	s_waitcnt lgkmcnt(0)
	s_lshr_b32 s1, s0, 16
	s_bfe_u32 s0, s0, 0xa0006
	s_mul_i32 s8, s8, s0
	s_mul_i32 s9, s9, s1
	v_add_lshl_u32 v18, s8, v2, 4
	v_add_u32_e32 v2, s9, v1
	v_lshlrev_b32_e32 v19, 4, v2
	v_cmp_gt_i32_e32 vcc, s22, v18
	v_cmp_gt_i32_e64 s[0:1], s23, v19
	s_and_b64 s[0:1], vcc, s[0:1]
	s_and_saveexec_b64 s[2:3], s[0:1]
	s_cbranch_execz .LBB13_37
; %bb.1:
	s_load_dwordx2 s[8:9], s[4:5], 0x4
	s_load_dword s30, s[6:7], 0x10
	s_load_dwordx4 s[0:3], s[6:7], 0x18
	s_load_dwordx8 s[12:19], s[6:7], 0x58
	v_bfe_u32 v0, v0, 20, 10
	s_waitcnt lgkmcnt(0)
	s_lshr_b32 s4, s8, 16
	s_mul_i32 s4, s4, s9
	v_mul_lo_u32 v2, s4, v17
	s_ashr_i32 s4, s22, 31
	s_lshr_b32 s4, s4, 28
	s_add_i32 s4, s22, s4
	s_and_b32 s4, s4, -16
	v_mul_u32_u24_e32 v1, s9, v1
	s_sub_i32 s4, s22, s4
	v_add3_u32 v0, v2, v1, v0
	v_mov_b32_e32 v1, s4
	s_ashr_i32 s4, s23, 31
	s_lshr_b32 s4, s4, 28
	s_add_i32 s4, s23, s4
	v_mul_lo_u32 v23, v0, 20
	v_add_u32_e32 v0, 16, v18
	s_and_b32 s4, s4, -16
	v_cmp_lt_i32_e32 vcc, s22, v0
	s_sub_i32 s4, s23, s4
	s_ashr_i32 s11, s10, 31
	v_cndmask_b32_e32 v16, 16, v1, vcc
	v_add_u32_e32 v0, 16, v19
	v_mov_b32_e32 v1, s4
	s_lshl_b64 s[4:5], s[10:11], 3
	v_cmp_lt_i32_e32 vcc, s23, v0
	s_load_dwordx2 s[28:29], s[0:1], 0x0
	s_load_dwordx2 s[22:23], s[14:15], 0x0
	s_add_u32 s0, s16, s4
	s_addc_u32 s1, s17, s5
	s_load_dwordx2 s[14:15], s[0:1], 0x0
	v_cndmask_b32_e32 v20, 16, v1, vcc
	v_bfe_u32 v21, v17, 2, 4
	v_and_b32_e32 v22, 3, v17
	s_cmp_lt_i32 s30, 1
	v_mov_b32_e32 v1, 0
	s_mov_b32 s31, 0
	v_cmp_lt_i32_e64 s[0:1], v21, v20
	v_mbcnt_lo_u32_b32 v24, -1, 0
	v_mov_b32_e32 v2, 0
	v_mov_b32_e32 v13, 0
	;; [unrolled: 1-line block ×7, first 2 shown]
	ds_write2_b32 v23, v1, v1 offset0:2 offset1:3
	ds_write2_b32 v23, v1, v1 offset1:1
	ds_write_b32 v23, v1 offset:16
	s_cbranch_scc1 .LBB13_29
; %bb.2:
	s_add_u32 s2, s2, s4
	s_addc_u32 s3, s3, s5
	s_load_dwordx4 s[24:27], s[6:7], 0x28
	s_load_dwordx2 s[4:5], s[2:3], 0x0
	s_load_dwordx4 s[36:39], s[6:7], 0x40
	s_load_dwordx2 s[40:41], s[6:7], 0x50
	v_and_b32_e32 v2, 63, v17
	v_lshrrev_b32_e32 v29, 4, v2
	s_waitcnt lgkmcnt(0)
	s_lshl_b64 s[2:3], s[24:25], 3
	s_add_u32 s4, s4, s2
	s_addc_u32 s5, s5, s3
	s_mul_i32 s2, s10, s13
	s_mul_hi_u32 s3, s10, s12
	s_add_i32 s2, s3, s2
	s_mul_i32 s3, s11, s12
	s_add_i32 s3, s2, s3
	s_mul_i32 s2, s10, s12
	s_lshl_b64 s[2:3], s[2:3], 3
	s_add_u32 s8, s36, s2
	s_addc_u32 s9, s37, s3
	s_lshl_b64 s[2:3], s[38:39], 3
	s_add_u32 s2, s8, s2
	s_addc_u32 s3, s9, s3
	s_cmpk_lg_i32 s20, 0x6f
	s_cselect_b64 s[10:11], -1, 0
	s_cmpk_eq_i32 s20, 0x6f
	s_cselect_b32 s8, s26, s27
	v_mul_lo_u32 v0, v18, s8
	v_ashrrev_i32_e32 v1, 31, v0
	s_cmpk_lg_i32 s21, 0x6f
	v_lshlrev_b64 v[0:1], 3, v[0:1]
	s_cselect_b64 s[12:13], -1, 0
	s_cmpk_eq_i32 s21, 0x6f
	v_add_co_u32_e32 v25, vcc, s4, v0
	s_cselect_b32 s4, s41, s40
	v_mov_b32_e32 v3, s5
	v_mul_lo_u32 v0, v19, s4
	v_addc_co_u32_e32 v26, vcc, v3, v1, vcc
	v_ashrrev_i32_e32 v1, 31, v0
	v_lshlrev_b64 v[0:1], 3, v[0:1]
	v_mov_b32_e32 v3, s3
	v_add_co_u32_e32 v27, vcc, s2, v0
	v_addc_co_u32_e32 v28, vcc, v3, v1, vcc
	v_and_b32_e32 v1, 15, v17
	v_mul_lo_u32 v0, v1, s26
	v_mad_u64_u32 v[4:5], s[24:25], s27, v29, v[0:1]
	v_mul_lo_u32 v0, s26, v22
	v_mad_u64_u32 v[6:7], s[24:25], v21, s27, v[0:1]
	v_mul_lo_u32 v0, s40, v22
	v_lshl_or_b32 v3, v1, 2, v29
	v_cmp_lt_i32_e64 s[4:5], v1, v16
	v_cmp_lt_i32_e64 s[8:9], v1, v20
	v_mul_lo_u32 v2, v1, s40
	s_cmpk_eq_i32 s20, 0x71
	v_mad_u64_u32 v[8:9], s[24:25], v21, s41, v[0:1]
	v_mbcnt_hi_u32_b32 v1, -1, v24
	s_cselect_b64 s[16:17], -1, 0
	s_cmpk_eq_i32 s21, 0x71
	v_mov_b32_e32 v0, 0
	v_and_or_b32 v1, v1, 64, v3
	v_cmp_lt_i32_e64 s[2:3], v21, v16
	s_cselect_b64 s[20:21], -1, 0
	s_lshl_b32 s33, s27, 2
	s_lshl_b32 s34, s26, 2
	;; [unrolled: 1-line block ×3, first 2 shown]
	v_mad_u64_u32 v[10:11], s[24:25], s41, v29, v[2:3]
	s_lshl_b32 s36, s41, 2
	v_lshlrev_b32_e32 v30, 2, v1
	v_mov_b32_e32 v3, v0
	v_mov_b32_e32 v2, v0
	;; [unrolled: 1-line block ×3, first 2 shown]
	s_branch .LBB13_6
.LBB13_3:                               ;   in Loop: Header=BB13_6 Depth=1
	s_or_b64 exec, exec, s[26:27]
.LBB13_4:                               ;   in Loop: Header=BB13_6 Depth=1
	s_or_b64 exec, exec, s[24:25]
	s_waitcnt vmcnt(0)
	ds_bpermute_b32 v14, v30, v14
	ds_bpermute_b32 v15, v30, v15
.LBB13_5:                               ;   in Loop: Header=BB13_6 Depth=1
	s_waitcnt vmcnt(0) lgkmcnt(0)
	v_cndmask_b32_e64 v7, v13, -v13, s[16:17]
	v_cndmask_b32_e64 v5, v15, -v15, s[20:21]
	v_mfma_f32_16x16x4f32 v[32:35], v12, v14, 0
	s_add_i32 s31, s31, 4
	v_add_u32_e32 v4, s33, v4
	v_add_u32_e32 v6, s34, v6
	;; [unrolled: 1-line block ×3, first 2 shown]
	s_cmp_ge_i32 s31, s30
	v_add_u32_e32 v10, s36, v10
	v_mfma_f32_16x16x4f32 v[40:43], v7, v5, 0
	v_mfma_f32_16x16x4f32 v[36:39], v12, v5, 0
	ds_read2_b32 v[12:13], v23 offset1:1
	ds_read2_b32 v[44:45], v23 offset0:3 offset1:4
	ds_read2_b32 v[46:47], v23 offset0:2 offset1:3
	;; [unrolled: 1-line block ×3, first 2 shown]
	s_nop 5
	v_sub_f32_e32 v35, v35, v43
	v_sub_f32_e32 v34, v34, v42
	;; [unrolled: 1-line block ×4, first 2 shown]
	s_waitcnt lgkmcnt(1)
	v_mov_b32_e32 v13, v46
	v_pk_add_f32 v[12:13], v[12:13], v[32:33]
	v_pk_add_f32 v[0:1], v[0:1], v[34:35]
	v_mfma_f32_16x16x4f32 v[32:35], v7, v14, 0
	s_waitcnt lgkmcnt(0)
	v_mov_b32_e32 v49, v44
	s_nop 7
	s_nop 0
	v_pk_add_f32 v[14:15], v[38:39], v[34:35]
	v_pk_add_f32 v[32:33], v[36:37], v[32:33]
	;; [unrolled: 1-line block ×4, first 2 shown]
	ds_write2_b32 v23, v12, v14 offset1:1
	v_mov_b32_e32 v12, v13
	v_mov_b32_e32 v5, v15
	ds_write2_b32 v23, v13, v15 offset0:2 offset1:3
	ds_write_b32 v23, v0 offset:16
	s_cbranch_scc1 .LBB13_28
.LBB13_6:                               ; =>This Inner Loop Header: Depth=1
	s_and_b64 vcc, exec, s[10:11]
	s_cbranch_vccz .LBB13_18
; %bb.7:                                ;   in Loop: Header=BB13_6 Depth=1
	v_mov_b32_e32 v12, 0
	v_mov_b32_e32 v13, 0
	s_and_saveexec_b64 s[24:25], s[2:3]
	s_cbranch_execz .LBB13_11
; %bb.8:                                ;   in Loop: Header=BB13_6 Depth=1
	v_add_u32_e32 v5, s31, v22
	v_cmp_gt_i32_e32 vcc, s30, v5
	v_mov_b32_e32 v13, 0
	v_mov_b32_e32 v12, 0
	s_and_saveexec_b64 s[26:27], vcc
	s_cbranch_execz .LBB13_10
; %bb.9:                                ;   in Loop: Header=BB13_6 Depth=1
	v_ashrrev_i32_e32 v7, 31, v6
	v_lshlrev_b64 v[12:13], 3, v[6:7]
	v_add_co_u32_e32 v12, vcc, v25, v12
	v_addc_co_u32_e32 v13, vcc, v26, v13, vcc
	global_load_dwordx2 v[12:13], v[12:13], off
.LBB13_10:                              ;   in Loop: Header=BB13_6 Depth=1
	s_or_b64 exec, exec, s[26:27]
.LBB13_11:                              ;   in Loop: Header=BB13_6 Depth=1
	s_or_b64 exec, exec, s[24:25]
	s_waitcnt vmcnt(0)
	ds_bpermute_b32 v12, v30, v12
	ds_bpermute_b32 v13, v30, v13
.LBB13_12:                              ;   in Loop: Header=BB13_6 Depth=1
	s_and_b64 vcc, exec, s[12:13]
	s_cbranch_vccz .LBB13_24
.LBB13_13:                              ;   in Loop: Header=BB13_6 Depth=1
	v_mov_b32_e32 v15, 0
	v_mov_b32_e32 v14, 0
	s_and_saveexec_b64 s[24:25], s[8:9]
	s_cbranch_execz .LBB13_17
; %bb.14:                               ;   in Loop: Header=BB13_6 Depth=1
	v_add_u32_e32 v5, s31, v29
	v_cmp_gt_i32_e32 vcc, s30, v5
	v_mov_b32_e32 v15, 0
	v_mov_b32_e32 v14, 0
	s_and_saveexec_b64 s[26:27], vcc
	s_cbranch_execz .LBB13_16
; %bb.15:                               ;   in Loop: Header=BB13_6 Depth=1
	v_ashrrev_i32_e32 v11, 31, v10
	v_lshlrev_b64 v[14:15], 3, v[10:11]
	v_add_co_u32_e32 v14, vcc, v27, v14
	v_addc_co_u32_e32 v15, vcc, v28, v15, vcc
	global_load_dwordx2 v[14:15], v[14:15], off
.LBB13_16:                              ;   in Loop: Header=BB13_6 Depth=1
	s_or_b64 exec, exec, s[26:27]
.LBB13_17:                              ;   in Loop: Header=BB13_6 Depth=1
	s_or_b64 exec, exec, s[24:25]
	s_cbranch_execnz .LBB13_5
	s_branch .LBB13_25
.LBB13_18:                              ;   in Loop: Header=BB13_6 Depth=1
                                        ; implicit-def: $vgpr13
	s_cbranch_execz .LBB13_12
; %bb.19:                               ;   in Loop: Header=BB13_6 Depth=1
	s_waitcnt lgkmcnt(0)
	v_mov_b32_e32 v13, 0
	v_mov_b32_e32 v12, 0
	s_and_saveexec_b64 s[24:25], s[4:5]
	s_cbranch_execz .LBB13_23
; %bb.20:                               ;   in Loop: Header=BB13_6 Depth=1
	v_add_u32_e32 v5, s31, v29
	v_cmp_gt_i32_e32 vcc, s30, v5
	v_mov_b32_e32 v13, 0
	v_mov_b32_e32 v12, 0
	s_and_saveexec_b64 s[26:27], vcc
	s_cbranch_execz .LBB13_22
; %bb.21:                               ;   in Loop: Header=BB13_6 Depth=1
	v_ashrrev_i32_e32 v5, 31, v4
	v_lshlrev_b64 v[12:13], 3, v[4:5]
	v_add_co_u32_e32 v12, vcc, v25, v12
	v_addc_co_u32_e32 v13, vcc, v26, v13, vcc
	global_load_dwordx2 v[12:13], v[12:13], off
.LBB13_22:                              ;   in Loop: Header=BB13_6 Depth=1
	s_or_b64 exec, exec, s[26:27]
.LBB13_23:                              ;   in Loop: Header=BB13_6 Depth=1
	s_or_b64 exec, exec, s[24:25]
	s_and_b64 vcc, exec, s[12:13]
	s_cbranch_vccnz .LBB13_13
.LBB13_24:                              ;   in Loop: Header=BB13_6 Depth=1
                                        ; implicit-def: $vgpr15
.LBB13_25:                              ;   in Loop: Header=BB13_6 Depth=1
	s_waitcnt vmcnt(0)
	v_mov_b32_e32 v14, 0
	v_mov_b32_e32 v15, 0
	s_and_saveexec_b64 s[24:25], s[0:1]
	s_cbranch_execz .LBB13_4
; %bb.26:                               ;   in Loop: Header=BB13_6 Depth=1
	v_add_u32_e32 v5, s31, v22
	v_cmp_gt_i32_e32 vcc, s30, v5
	v_mov_b32_e32 v15, 0
	v_mov_b32_e32 v14, 0
	s_and_saveexec_b64 s[26:27], vcc
	s_cbranch_execz .LBB13_3
; %bb.27:                               ;   in Loop: Header=BB13_6 Depth=1
	v_ashrrev_i32_e32 v9, 31, v8
	v_lshlrev_b64 v[14:15], 3, v[8:9]
	v_add_co_u32_e32 v14, vcc, v27, v14
	v_addc_co_u32_e32 v15, vcc, v28, v15, vcc
	global_load_dwordx2 v[14:15], v[14:15], off
	s_branch .LBB13_3
.LBB13_28:
	ds_read_b32 v4, v23
.LBB13_29:
	s_load_dwordx2 s[2:3], s[6:7], 0x78
	s_lshl_b64 s[0:1], s[18:19], 3
	s_waitcnt lgkmcnt(0)
	s_add_u32 s4, s14, s0
	s_addc_u32 s5, s15, s1
	v_mov_b32_e32 v8, s5
	v_mul_lo_u32 v6, v18, s2
	v_mad_u64_u32 v[6:7], s[0:1], v19, s3, v[6:7]
	v_ashrrev_i32_e32 v7, 31, v6
	v_lshlrev_b64 v[6:7], 3, v[6:7]
	v_add_co_u32_e32 v5, vcc, s4, v6
	v_addc_co_u32_e32 v6, vcc, v8, v7, vcc
	v_lshlrev_b32_e32 v8, 4, v17
	v_mbcnt_hi_u32_b32 v9, -1, v24
	v_and_b32_e32 v8, 48, v8
	v_and_b32_e32 v9, 64, v9
	v_or3_b32 v8, v8, v9, v21
	v_lshlrev_b32_e32 v8, 2, v8
	ds_bpermute_b32 v9, v8, v4
	ds_bpermute_b32 v10, v8, v14
	v_lshlrev_b32_e32 v7, 2, v22
	v_cmp_lt_i32_e32 vcc, v21, v20
	v_cmp_lt_i32_e64 s[0:1], v7, v16
	v_mul_lo_u32 v4, v21, s3
	s_and_b64 s[0:1], vcc, s[0:1]
	s_and_saveexec_b64 s[4:5], s[0:1]
	s_cbranch_execz .LBB13_31
; %bb.30:
	v_mad_u64_u32 v[18:19], s[0:1], v7, s2, v[4:5]
	v_ashrrev_i32_e32 v19, 31, v18
	v_lshlrev_b64 v[18:19], 3, v[18:19]
	v_add_co_u32_e64 v18, s[0:1], v5, v18
	v_addc_co_u32_e64 v19, s[0:1], v6, v19, s[0:1]
	global_load_dwordx2 v[20:21], v[18:19], off
	s_waitcnt lgkmcnt(0)
	v_mul_f32_e32 v11, s29, v10
	v_mul_f32_e32 v12, s29, v9
	v_fma_f32 v9, s28, v9, -v11
	v_fmac_f32_e32 v12, s28, v10
	s_waitcnt vmcnt(0)
	v_mul_f32_e32 v10, s23, v21
	v_mul_f32_e32 v11, s22, v21
	v_fma_f32 v10, s22, v20, -v10
	v_fmac_f32_e32 v11, s23, v20
	v_add_f32_e32 v10, v9, v10
	v_add_f32_e32 v11, v12, v11
	global_store_dwordx2 v[18:19], v[10:11], off
.LBB13_31:
	s_or_b64 exec, exec, s[4:5]
	s_waitcnt lgkmcnt(1)
	ds_bpermute_b32 v9, v8, v13
	s_waitcnt lgkmcnt(1)
	ds_bpermute_b32 v10, v8, v15
	v_or_b32_e32 v11, 1, v7
	v_cmp_lt_i32_e64 s[0:1], v11, v16
	s_and_b64 s[0:1], vcc, s[0:1]
	s_and_saveexec_b64 s[4:5], s[0:1]
	s_cbranch_execz .LBB13_33
; %bb.32:
	v_mad_u64_u32 v[12:13], s[0:1], v11, s2, v[4:5]
	v_ashrrev_i32_e32 v13, 31, v12
	v_lshlrev_b64 v[12:13], 3, v[12:13]
	v_add_co_u32_e64 v12, s[0:1], v5, v12
	v_addc_co_u32_e64 v13, s[0:1], v6, v13, s[0:1]
	global_load_dwordx2 v[14:15], v[12:13], off
	s_waitcnt lgkmcnt(0)
	v_mul_f32_e32 v11, s29, v10
	v_mul_f32_e32 v17, s28, v10
	v_fma_f32 v10, s28, v9, -v11
	v_fmac_f32_e32 v17, s29, v9
	s_waitcnt vmcnt(0)
	v_mul_f32_e32 v9, s23, v15
	v_mul_f32_e32 v11, s22, v15
	v_fma_f32 v9, s22, v14, -v9
	v_fmac_f32_e32 v11, s23, v14
	v_add_f32_e32 v10, v10, v9
	v_add_f32_e32 v11, v17, v11
	global_store_dwordx2 v[12:13], v[10:11], off
.LBB13_33:
	s_or_b64 exec, exec, s[4:5]
	ds_bpermute_b32 v0, v8, v0
	ds_bpermute_b32 v2, v8, v2
	s_waitcnt lgkmcnt(3)
	v_or_b32_e32 v9, 2, v7
	v_cmp_lt_i32_e64 s[0:1], v9, v16
	s_and_b64 s[0:1], vcc, s[0:1]
	s_and_saveexec_b64 s[4:5], s[0:1]
	s_cbranch_execz .LBB13_35
; %bb.34:
	s_waitcnt lgkmcnt(2)
	v_mad_u64_u32 v[10:11], s[0:1], v9, s2, v[4:5]
	v_ashrrev_i32_e32 v11, 31, v10
	v_lshlrev_b64 v[10:11], 3, v[10:11]
	v_add_co_u32_e64 v10, s[0:1], v5, v10
	v_addc_co_u32_e64 v11, s[0:1], v6, v11, s[0:1]
	global_load_dwordx2 v[12:13], v[10:11], off
	s_waitcnt lgkmcnt(0)
	v_mul_f32_e32 v9, s29, v2
	v_mul_f32_e32 v2, s28, v2
	v_fma_f32 v9, s28, v0, -v9
	v_fmac_f32_e32 v2, s29, v0
	s_waitcnt vmcnt(0)
	v_mul_f32_e32 v0, s23, v13
	v_mul_f32_e32 v13, s22, v13
	v_fma_f32 v0, s22, v12, -v0
	v_fmac_f32_e32 v13, s23, v12
	v_add_f32_e32 v12, v9, v0
	v_add_f32_e32 v13, v2, v13
	global_store_dwordx2 v[10:11], v[12:13], off
.LBB13_35:
	s_or_b64 exec, exec, s[4:5]
	s_waitcnt lgkmcnt(1)
	ds_bpermute_b32 v0, v8, v1
	ds_bpermute_b32 v1, v8, v3
	s_waitcnt lgkmcnt(2)
	v_or_b32_e32 v2, 3, v7
	v_cmp_lt_i32_e64 s[0:1], v2, v16
	s_and_b64 s[0:1], vcc, s[0:1]
	s_and_b64 exec, exec, s[0:1]
	s_cbranch_execz .LBB13_37
; %bb.36:
	v_mad_u64_u32 v[2:3], s[0:1], v2, s2, v[4:5]
	v_ashrrev_i32_e32 v3, 31, v2
	v_lshlrev_b64 v[2:3], 3, v[2:3]
	v_add_co_u32_e32 v2, vcc, v5, v2
	v_addc_co_u32_e32 v3, vcc, v6, v3, vcc
	global_load_dwordx2 v[4:5], v[2:3], off
	s_waitcnt lgkmcnt(0)
	v_mul_f32_e32 v6, s29, v1
	v_mul_f32_e32 v1, s28, v1
	v_fma_f32 v6, s28, v0, -v6
	v_fmac_f32_e32 v1, s29, v0
	s_waitcnt vmcnt(0)
	v_mul_f32_e32 v0, s23, v5
	v_mul_f32_e32 v5, s22, v5
	v_fma_f32 v0, s22, v4, -v0
	v_fmac_f32_e32 v5, s23, v4
	v_add_f32_e32 v0, v6, v0
	v_add_f32_e32 v1, v1, v5
	global_store_dwordx2 v[2:3], v[0:1], off
.LBB13_37:
	s_endpgm
	.section	.rodata,"a",@progbits
	.p2align	6, 0x0
	.amdhsa_kernel _ZN9rocsolver6v33100L16mfma_gemm_kernelI19rocblas_complex_numIfEiPKS3_PKPS3_S6_S8_EEv18rocblas_operation_S9_T0_SA_SA_T1_T2_lSA_SA_lT3_lSA_SA_lSB_T4_lSA_SA_l
		.amdhsa_group_segment_fixed_size 20480
		.amdhsa_private_segment_fixed_size 0
		.amdhsa_kernarg_size 392
		.amdhsa_user_sgpr_count 8
		.amdhsa_user_sgpr_private_segment_buffer 1
		.amdhsa_user_sgpr_dispatch_ptr 1
		.amdhsa_user_sgpr_queue_ptr 0
		.amdhsa_user_sgpr_kernarg_segment_ptr 1
		.amdhsa_user_sgpr_dispatch_id 0
		.amdhsa_user_sgpr_flat_scratch_init 0
		.amdhsa_user_sgpr_kernarg_preload_length 0
		.amdhsa_user_sgpr_kernarg_preload_offset 0
		.amdhsa_user_sgpr_private_segment_size 0
		.amdhsa_uses_dynamic_stack 0
		.amdhsa_system_sgpr_private_segment_wavefront_offset 0
		.amdhsa_system_sgpr_workgroup_id_x 1
		.amdhsa_system_sgpr_workgroup_id_y 1
		.amdhsa_system_sgpr_workgroup_id_z 1
		.amdhsa_system_sgpr_workgroup_info 0
		.amdhsa_system_vgpr_workitem_id 2
		.amdhsa_next_free_vgpr 50
		.amdhsa_next_free_sgpr 42
		.amdhsa_accum_offset 52
		.amdhsa_reserve_vcc 1
		.amdhsa_reserve_flat_scratch 0
		.amdhsa_float_round_mode_32 0
		.amdhsa_float_round_mode_16_64 0
		.amdhsa_float_denorm_mode_32 3
		.amdhsa_float_denorm_mode_16_64 3
		.amdhsa_dx10_clamp 1
		.amdhsa_ieee_mode 1
		.amdhsa_fp16_overflow 0
		.amdhsa_tg_split 0
		.amdhsa_exception_fp_ieee_invalid_op 0
		.amdhsa_exception_fp_denorm_src 0
		.amdhsa_exception_fp_ieee_div_zero 0
		.amdhsa_exception_fp_ieee_overflow 0
		.amdhsa_exception_fp_ieee_underflow 0
		.amdhsa_exception_fp_ieee_inexact 0
		.amdhsa_exception_int_div_zero 0
	.end_amdhsa_kernel
	.section	.text._ZN9rocsolver6v33100L16mfma_gemm_kernelI19rocblas_complex_numIfEiPKS3_PKPS3_S6_S8_EEv18rocblas_operation_S9_T0_SA_SA_T1_T2_lSA_SA_lT3_lSA_SA_lSB_T4_lSA_SA_l,"axG",@progbits,_ZN9rocsolver6v33100L16mfma_gemm_kernelI19rocblas_complex_numIfEiPKS3_PKPS3_S6_S8_EEv18rocblas_operation_S9_T0_SA_SA_T1_T2_lSA_SA_lT3_lSA_SA_lSB_T4_lSA_SA_l,comdat
.Lfunc_end13:
	.size	_ZN9rocsolver6v33100L16mfma_gemm_kernelI19rocblas_complex_numIfEiPKS3_PKPS3_S6_S8_EEv18rocblas_operation_S9_T0_SA_SA_T1_T2_lSA_SA_lT3_lSA_SA_lSB_T4_lSA_SA_l, .Lfunc_end13-_ZN9rocsolver6v33100L16mfma_gemm_kernelI19rocblas_complex_numIfEiPKS3_PKPS3_S6_S8_EEv18rocblas_operation_S9_T0_SA_SA_T1_T2_lSA_SA_lT3_lSA_SA_lSB_T4_lSA_SA_l
                                        ; -- End function
	.section	.AMDGPU.csdata,"",@progbits
; Kernel info:
; codeLenInByte = 2136
; NumSgprs: 46
; NumVgprs: 50
; NumAgprs: 0
; TotalNumVgprs: 50
; ScratchSize: 0
; MemoryBound: 0
; FloatMode: 240
; IeeeMode: 1
; LDSByteSize: 20480 bytes/workgroup (compile time only)
; SGPRBlocks: 5
; VGPRBlocks: 6
; NumSGPRsForWavesPerEU: 46
; NumVGPRsForWavesPerEU: 50
; AccumOffset: 52
; Occupancy: 8
; WaveLimiterHint : 1
; COMPUTE_PGM_RSRC2:SCRATCH_EN: 0
; COMPUTE_PGM_RSRC2:USER_SGPR: 8
; COMPUTE_PGM_RSRC2:TRAP_HANDLER: 0
; COMPUTE_PGM_RSRC2:TGID_X_EN: 1
; COMPUTE_PGM_RSRC2:TGID_Y_EN: 1
; COMPUTE_PGM_RSRC2:TGID_Z_EN: 1
; COMPUTE_PGM_RSRC2:TIDIG_COMP_CNT: 2
; COMPUTE_PGM_RSRC3_GFX90A:ACCUM_OFFSET: 12
; COMPUTE_PGM_RSRC3_GFX90A:TG_SPLIT: 0
	.section	.text._ZN9rocsolver6v33100L16mfma_gemm_kernelI19rocblas_complex_numIfEiS3_PKPS3_S4_S6_EEv18rocblas_operation_S7_T0_S8_S8_T1_T2_lS8_S8_lT3_lS8_S8_lS9_T4_lS8_S8_l,"axG",@progbits,_ZN9rocsolver6v33100L16mfma_gemm_kernelI19rocblas_complex_numIfEiS3_PKPS3_S4_S6_EEv18rocblas_operation_S7_T0_S8_S8_T1_T2_lS8_S8_lT3_lS8_S8_lS9_T4_lS8_S8_l,comdat
	.globl	_ZN9rocsolver6v33100L16mfma_gemm_kernelI19rocblas_complex_numIfEiS3_PKPS3_S4_S6_EEv18rocblas_operation_S7_T0_S8_S8_T1_T2_lS8_S8_lT3_lS8_S8_lS9_T4_lS8_S8_l ; -- Begin function _ZN9rocsolver6v33100L16mfma_gemm_kernelI19rocblas_complex_numIfEiS3_PKPS3_S4_S6_EEv18rocblas_operation_S7_T0_S8_S8_T1_T2_lS8_S8_lT3_lS8_S8_lS9_T4_lS8_S8_l
	.p2align	8
	.type	_ZN9rocsolver6v33100L16mfma_gemm_kernelI19rocblas_complex_numIfEiS3_PKPS3_S4_S6_EEv18rocblas_operation_S7_T0_S8_S8_T1_T2_lS8_S8_lT3_lS8_S8_lS9_T4_lS8_S8_l,@function
_ZN9rocsolver6v33100L16mfma_gemm_kernelI19rocblas_complex_numIfEiS3_PKPS3_S4_S6_EEv18rocblas_operation_S7_T0_S8_S8_T1_T2_lS8_S8_lT3_lS8_S8_lS9_T4_lS8_S8_l: ; @_ZN9rocsolver6v33100L16mfma_gemm_kernelI19rocblas_complex_numIfEiS3_PKPS3_S4_S6_EEv18rocblas_operation_S7_T0_S8_S8_T1_T2_lS8_S8_lT3_lS8_S8_lS9_T4_lS8_S8_l
; %bb.0:
	s_load_dword s0, s[6:7], 0x94
	s_load_dwordx4 s[28:31], s[6:7], 0x0
	v_and_b32_e32 v17, 0x3ff, v0
	v_bfe_u32 v1, v0, 10, 10
	v_lshrrev_b32_e32 v2, 6, v17
	s_waitcnt lgkmcnt(0)
	s_lshr_b32 s1, s0, 16
	s_bfe_u32 s0, s0, 0xa0006
	s_mul_i32 s8, s8, s0
	s_mul_i32 s9, s9, s1
	v_add_lshl_u32 v18, s8, v2, 4
	v_add_u32_e32 v2, s9, v1
	v_lshlrev_b32_e32 v19, 4, v2
	v_cmp_gt_i32_e32 vcc, s30, v18
	v_cmp_gt_i32_e64 s[0:1], s31, v19
	s_and_b64 s[0:1], vcc, s[0:1]
	s_and_saveexec_b64 s[2:3], s[0:1]
	s_cbranch_execz .LBB14_37
; %bb.1:
	s_load_dwordx2 s[0:1], s[4:5], 0x4
	s_load_dwordx4 s[20:23], s[6:7], 0x10
	s_load_dwordx2 s[34:35], s[6:7], 0x60
	s_load_dwordx4 s[24:27], s[6:7], 0x68
	v_bfe_u32 v0, v0, 20, 10
	s_waitcnt lgkmcnt(0)
	s_lshr_b32 s0, s0, 16
	s_mul_i32 s0, s0, s1
	v_mul_lo_u32 v2, s0, v17
	s_ashr_i32 s0, s30, 31
	s_lshr_b32 s0, s0, 28
	s_add_i32 s0, s30, s0
	s_and_b32 s0, s0, -16
	v_mul_u32_u24_e32 v1, s1, v1
	s_sub_i32 s0, s30, s0
	v_add3_u32 v0, v2, v1, v0
	v_mov_b32_e32 v1, s0
	s_ashr_i32 s0, s31, 31
	s_lshr_b32 s0, s0, 28
	s_add_i32 s0, s31, s0
	v_mul_lo_u32 v24, v0, 20
	v_add_u32_e32 v0, 16, v18
	s_and_b32 s0, s0, -16
	s_ashr_i32 s11, s10, 31
	v_cmp_lt_i32_e32 vcc, s30, v0
	s_sub_i32 s0, s31, s0
	s_lshl_b64 s[2:3], s[10:11], 3
	v_cndmask_b32_e32 v16, 16, v1, vcc
	v_mov_b32_e32 v1, s0
	s_add_u32 s0, s24, s2
	s_addc_u32 s1, s25, s3
	s_load_dwordx2 s[24:25], s[0:1], 0x0
	v_add_u32_e32 v0, 16, v19
	v_cmp_lt_i32_e32 vcc, s31, v0
	v_cndmask_b32_e32 v20, 16, v1, vcc
	v_bfe_u32 v21, v17, 2, 4
	v_and_b32_e32 v22, 3, v17
	s_cmp_lt_i32 s20, 1
	v_mov_b32_e32 v1, 0
	s_mov_b32 s23, 0
	v_cmp_lt_i32_e64 s[0:1], v21, v20
	v_mbcnt_lo_u32_b32 v23, -1, 0
	v_mov_b32_e32 v2, 0
	v_mov_b32_e32 v13, 0
	;; [unrolled: 1-line block ×7, first 2 shown]
	ds_write2_b32 v24, v1, v1 offset0:2 offset1:3
	ds_write2_b32 v24, v1, v1 offset1:1
	ds_write_b32 v24, v1 offset:16
	s_cbranch_scc1 .LBB14_29
; %bb.2:
	s_load_dwordx4 s[36:39], s[6:7], 0x20
	s_load_dwordx8 s[12:19], s[6:7], 0x40
	s_load_dwordx2 s[40:41], s[6:7], 0x30
	v_and_b32_e32 v2, 63, v17
	v_lshrrev_b32_e32 v29, 4, v2
	s_waitcnt lgkmcnt(0)
	s_mul_i32 s8, s10, s19
	s_add_u32 s2, s36, s2
	s_addc_u32 s3, s37, s3
	s_load_dwordx2 s[2:3], s[2:3], 0x0
	s_lshl_b64 s[4:5], s[38:39], 3
	s_mul_hi_u32 s9, s10, s18
	s_mul_i32 s11, s11, s18
	s_waitcnt lgkmcnt(0)
	s_add_u32 s4, s2, s4
	s_addc_u32 s5, s3, s5
	s_add_i32 s2, s9, s8
	s_add_i32 s3, s2, s11
	s_mul_i32 s2, s10, s18
	s_lshl_b64 s[2:3], s[2:3], 3
	s_add_u32 s8, s12, s2
	s_addc_u32 s9, s13, s3
	s_lshl_b64 s[2:3], s[14:15], 3
	s_add_u32 s2, s8, s2
	s_addc_u32 s3, s9, s3
	s_cmpk_lg_i32 s28, 0x6f
	s_cselect_b64 s[10:11], -1, 0
	s_cmpk_eq_i32 s28, 0x6f
	s_cselect_b32 s8, s40, s41
	v_mul_lo_u32 v0, v18, s8
	v_ashrrev_i32_e32 v1, 31, v0
	s_cmpk_lg_i32 s29, 0x6f
	v_lshlrev_b64 v[0:1], 3, v[0:1]
	s_cselect_b64 s[12:13], -1, 0
	s_cmpk_eq_i32 s29, 0x6f
	v_add_co_u32_e32 v25, vcc, s4, v0
	s_cselect_b32 s4, s17, s16
	v_mov_b32_e32 v3, s5
	v_mul_lo_u32 v0, v19, s4
	v_addc_co_u32_e32 v26, vcc, v3, v1, vcc
	v_ashrrev_i32_e32 v1, 31, v0
	v_lshlrev_b64 v[0:1], 3, v[0:1]
	v_mov_b32_e32 v3, s3
	v_add_co_u32_e32 v27, vcc, s2, v0
	v_addc_co_u32_e32 v28, vcc, v3, v1, vcc
	v_and_b32_e32 v1, 15, v17
	v_mul_lo_u32 v0, v1, s40
	s_cmpk_eq_i32 s28, 0x71
	s_cselect_b64 s[14:15], -1, 0
	s_cmpk_eq_i32 s29, 0x71
	v_mad_u64_u32 v[4:5], s[28:29], s41, v29, v[0:1]
	v_mul_lo_u32 v0, s40, v22
	v_mad_u64_u32 v[6:7], s[28:29], v21, s41, v[0:1]
	v_mul_lo_u32 v0, s16, v22
	v_lshl_or_b32 v3, v1, 2, v29
	v_cmp_lt_i32_e64 s[4:5], v1, v16
	v_cmp_lt_i32_e64 s[8:9], v1, v20
	v_mul_lo_u32 v2, v1, s16
	v_mad_u64_u32 v[8:9], s[28:29], v21, s17, v[0:1]
	v_mbcnt_hi_u32_b32 v1, -1, v23
	v_mov_b32_e32 v0, 0
	v_and_or_b32 v1, v1, 64, v3
	v_cmp_lt_i32_e64 s[2:3], v21, v16
	s_cselect_b64 s[18:19], -1, 0
	s_lshl_b32 s30, s41, 2
	s_lshl_b32 s31, s40, 2
	;; [unrolled: 1-line block ×3, first 2 shown]
	v_mad_u64_u32 v[10:11], s[28:29], s17, v29, v[2:3]
	s_lshl_b32 s36, s17, 2
	v_lshlrev_b32_e32 v30, 2, v1
	v_mov_b32_e32 v3, v0
	v_mov_b32_e32 v2, v0
	;; [unrolled: 1-line block ×3, first 2 shown]
	s_branch .LBB14_6
.LBB14_3:                               ;   in Loop: Header=BB14_6 Depth=1
	s_or_b64 exec, exec, s[28:29]
.LBB14_4:                               ;   in Loop: Header=BB14_6 Depth=1
	s_or_b64 exec, exec, s[16:17]
	s_waitcnt vmcnt(0)
	ds_bpermute_b32 v14, v30, v14
	ds_bpermute_b32 v15, v30, v15
.LBB14_5:                               ;   in Loop: Header=BB14_6 Depth=1
	s_waitcnt vmcnt(0) lgkmcnt(0)
	v_cndmask_b32_e64 v7, v13, -v13, s[14:15]
	v_cndmask_b32_e64 v5, v15, -v15, s[18:19]
	v_mfma_f32_16x16x4f32 v[32:35], v12, v14, 0
	s_add_i32 s23, s23, 4
	v_add_u32_e32 v4, s30, v4
	v_add_u32_e32 v6, s31, v6
	;; [unrolled: 1-line block ×3, first 2 shown]
	s_cmp_ge_i32 s23, s20
	v_add_u32_e32 v10, s36, v10
	v_mfma_f32_16x16x4f32 v[40:43], v7, v5, 0
	v_mfma_f32_16x16x4f32 v[36:39], v12, v5, 0
	ds_read2_b32 v[12:13], v24 offset1:1
	ds_read2_b32 v[44:45], v24 offset0:3 offset1:4
	ds_read2_b32 v[46:47], v24 offset0:2 offset1:3
	ds_read2_b32 v[48:49], v24 offset0:1 offset1:2
	s_nop 5
	v_sub_f32_e32 v35, v35, v43
	v_sub_f32_e32 v34, v34, v42
	;; [unrolled: 1-line block ×4, first 2 shown]
	s_waitcnt lgkmcnt(1)
	v_mov_b32_e32 v13, v46
	v_pk_add_f32 v[12:13], v[12:13], v[32:33]
	v_pk_add_f32 v[0:1], v[0:1], v[34:35]
	v_mfma_f32_16x16x4f32 v[32:35], v7, v14, 0
	s_waitcnt lgkmcnt(0)
	v_mov_b32_e32 v49, v44
	s_nop 7
	s_nop 0
	v_pk_add_f32 v[14:15], v[38:39], v[34:35]
	v_pk_add_f32 v[32:33], v[36:37], v[32:33]
	;; [unrolled: 1-line block ×4, first 2 shown]
	ds_write2_b32 v24, v12, v14 offset1:1
	v_mov_b32_e32 v12, v13
	v_mov_b32_e32 v5, v15
	ds_write2_b32 v24, v13, v15 offset0:2 offset1:3
	ds_write_b32 v24, v0 offset:16
	s_cbranch_scc1 .LBB14_28
.LBB14_6:                               ; =>This Inner Loop Header: Depth=1
	s_and_b64 vcc, exec, s[10:11]
	s_cbranch_vccz .LBB14_18
; %bb.7:                                ;   in Loop: Header=BB14_6 Depth=1
	v_mov_b32_e32 v12, 0
	v_mov_b32_e32 v13, 0
	s_and_saveexec_b64 s[16:17], s[2:3]
	s_cbranch_execz .LBB14_11
; %bb.8:                                ;   in Loop: Header=BB14_6 Depth=1
	v_add_u32_e32 v5, s23, v22
	v_cmp_gt_i32_e32 vcc, s20, v5
	v_mov_b32_e32 v13, 0
	v_mov_b32_e32 v12, 0
	s_and_saveexec_b64 s[28:29], vcc
	s_cbranch_execz .LBB14_10
; %bb.9:                                ;   in Loop: Header=BB14_6 Depth=1
	v_ashrrev_i32_e32 v7, 31, v6
	v_lshlrev_b64 v[12:13], 3, v[6:7]
	v_add_co_u32_e32 v12, vcc, v25, v12
	v_addc_co_u32_e32 v13, vcc, v26, v13, vcc
	global_load_dwordx2 v[12:13], v[12:13], off
.LBB14_10:                              ;   in Loop: Header=BB14_6 Depth=1
	s_or_b64 exec, exec, s[28:29]
.LBB14_11:                              ;   in Loop: Header=BB14_6 Depth=1
	s_or_b64 exec, exec, s[16:17]
	s_waitcnt vmcnt(0)
	ds_bpermute_b32 v12, v30, v12
	ds_bpermute_b32 v13, v30, v13
.LBB14_12:                              ;   in Loop: Header=BB14_6 Depth=1
	s_and_b64 vcc, exec, s[12:13]
	s_cbranch_vccz .LBB14_24
.LBB14_13:                              ;   in Loop: Header=BB14_6 Depth=1
	v_mov_b32_e32 v15, 0
	v_mov_b32_e32 v14, 0
	s_and_saveexec_b64 s[16:17], s[8:9]
	s_cbranch_execz .LBB14_17
; %bb.14:                               ;   in Loop: Header=BB14_6 Depth=1
	v_add_u32_e32 v5, s23, v29
	v_cmp_gt_i32_e32 vcc, s20, v5
	v_mov_b32_e32 v15, 0
	v_mov_b32_e32 v14, 0
	s_and_saveexec_b64 s[28:29], vcc
	s_cbranch_execz .LBB14_16
; %bb.15:                               ;   in Loop: Header=BB14_6 Depth=1
	v_ashrrev_i32_e32 v11, 31, v10
	v_lshlrev_b64 v[14:15], 3, v[10:11]
	v_add_co_u32_e32 v14, vcc, v27, v14
	v_addc_co_u32_e32 v15, vcc, v28, v15, vcc
	global_load_dwordx2 v[14:15], v[14:15], off
.LBB14_16:                              ;   in Loop: Header=BB14_6 Depth=1
	s_or_b64 exec, exec, s[28:29]
.LBB14_17:                              ;   in Loop: Header=BB14_6 Depth=1
	s_or_b64 exec, exec, s[16:17]
	s_cbranch_execnz .LBB14_5
	s_branch .LBB14_25
.LBB14_18:                              ;   in Loop: Header=BB14_6 Depth=1
                                        ; implicit-def: $vgpr13
	s_cbranch_execz .LBB14_12
; %bb.19:                               ;   in Loop: Header=BB14_6 Depth=1
	s_waitcnt lgkmcnt(0)
	v_mov_b32_e32 v13, 0
	v_mov_b32_e32 v12, 0
	s_and_saveexec_b64 s[16:17], s[4:5]
	s_cbranch_execz .LBB14_23
; %bb.20:                               ;   in Loop: Header=BB14_6 Depth=1
	v_add_u32_e32 v5, s23, v29
	v_cmp_gt_i32_e32 vcc, s20, v5
	v_mov_b32_e32 v13, 0
	v_mov_b32_e32 v12, 0
	s_and_saveexec_b64 s[28:29], vcc
	s_cbranch_execz .LBB14_22
; %bb.21:                               ;   in Loop: Header=BB14_6 Depth=1
	v_ashrrev_i32_e32 v5, 31, v4
	v_lshlrev_b64 v[12:13], 3, v[4:5]
	v_add_co_u32_e32 v12, vcc, v25, v12
	v_addc_co_u32_e32 v13, vcc, v26, v13, vcc
	global_load_dwordx2 v[12:13], v[12:13], off
.LBB14_22:                              ;   in Loop: Header=BB14_6 Depth=1
	s_or_b64 exec, exec, s[28:29]
.LBB14_23:                              ;   in Loop: Header=BB14_6 Depth=1
	s_or_b64 exec, exec, s[16:17]
	s_and_b64 vcc, exec, s[12:13]
	s_cbranch_vccnz .LBB14_13
.LBB14_24:                              ;   in Loop: Header=BB14_6 Depth=1
                                        ; implicit-def: $vgpr15
.LBB14_25:                              ;   in Loop: Header=BB14_6 Depth=1
	s_waitcnt vmcnt(0)
	v_mov_b32_e32 v14, 0
	v_mov_b32_e32 v15, 0
	s_and_saveexec_b64 s[16:17], s[0:1]
	s_cbranch_execz .LBB14_4
; %bb.26:                               ;   in Loop: Header=BB14_6 Depth=1
	v_add_u32_e32 v5, s23, v22
	v_cmp_gt_i32_e32 vcc, s20, v5
	v_mov_b32_e32 v15, 0
	v_mov_b32_e32 v14, 0
	s_and_saveexec_b64 s[28:29], vcc
	s_cbranch_execz .LBB14_3
; %bb.27:                               ;   in Loop: Header=BB14_6 Depth=1
	v_ashrrev_i32_e32 v9, 31, v8
	v_lshlrev_b64 v[14:15], 3, v[8:9]
	v_add_co_u32_e32 v14, vcc, v27, v14
	v_addc_co_u32_e32 v15, vcc, v28, v15, vcc
	global_load_dwordx2 v[14:15], v[14:15], off
	s_branch .LBB14_3
.LBB14_28:
	ds_read_b32 v4, v24
.LBB14_29:
	s_load_dwordx2 s[2:3], s[6:7], 0x78
	s_lshl_b64 s[0:1], s[26:27], 3
	s_waitcnt lgkmcnt(0)
	s_add_u32 s4, s24, s0
	s_addc_u32 s5, s25, s1
	v_mov_b32_e32 v8, s5
	v_mul_lo_u32 v6, v18, s2
	v_mad_u64_u32 v[6:7], s[0:1], v19, s3, v[6:7]
	v_ashrrev_i32_e32 v7, 31, v6
	v_lshlrev_b64 v[6:7], 3, v[6:7]
	v_add_co_u32_e32 v5, vcc, s4, v6
	v_addc_co_u32_e32 v6, vcc, v8, v7, vcc
	v_lshlrev_b32_e32 v8, 4, v17
	v_mbcnt_hi_u32_b32 v9, -1, v23
	v_and_b32_e32 v8, 48, v8
	v_and_b32_e32 v9, 64, v9
	v_or3_b32 v8, v8, v9, v21
	v_lshlrev_b32_e32 v8, 2, v8
	ds_bpermute_b32 v9, v8, v4
	ds_bpermute_b32 v10, v8, v14
	v_lshlrev_b32_e32 v7, 2, v22
	v_cmp_lt_i32_e32 vcc, v21, v20
	v_cmp_lt_i32_e64 s[0:1], v7, v16
	v_mul_lo_u32 v4, v21, s3
	s_and_b64 s[0:1], vcc, s[0:1]
	s_and_saveexec_b64 s[4:5], s[0:1]
	s_cbranch_execz .LBB14_31
; %bb.30:
	v_mad_u64_u32 v[18:19], s[0:1], v7, s2, v[4:5]
	v_ashrrev_i32_e32 v19, 31, v18
	v_lshlrev_b64 v[18:19], 3, v[18:19]
	v_add_co_u32_e64 v18, s[0:1], v5, v18
	v_addc_co_u32_e64 v19, s[0:1], v6, v19, s[0:1]
	global_load_dwordx2 v[20:21], v[18:19], off
	s_waitcnt lgkmcnt(0)
	v_mul_f32_e32 v11, s22, v10
	v_mul_f32_e32 v12, s22, v9
	v_fma_f32 v9, s21, v9, -v11
	v_fmac_f32_e32 v12, s21, v10
	s_waitcnt vmcnt(0)
	v_mul_f32_e32 v10, s35, v21
	v_mul_f32_e32 v11, s34, v21
	v_fma_f32 v10, s34, v20, -v10
	v_fmac_f32_e32 v11, s35, v20
	v_add_f32_e32 v10, v9, v10
	v_add_f32_e32 v11, v12, v11
	global_store_dwordx2 v[18:19], v[10:11], off
.LBB14_31:
	s_or_b64 exec, exec, s[4:5]
	s_waitcnt lgkmcnt(1)
	ds_bpermute_b32 v9, v8, v13
	s_waitcnt lgkmcnt(1)
	ds_bpermute_b32 v10, v8, v15
	v_or_b32_e32 v11, 1, v7
	v_cmp_lt_i32_e64 s[0:1], v11, v16
	s_and_b64 s[0:1], vcc, s[0:1]
	s_and_saveexec_b64 s[4:5], s[0:1]
	s_cbranch_execz .LBB14_33
; %bb.32:
	v_mad_u64_u32 v[12:13], s[0:1], v11, s2, v[4:5]
	v_ashrrev_i32_e32 v13, 31, v12
	v_lshlrev_b64 v[12:13], 3, v[12:13]
	v_add_co_u32_e64 v12, s[0:1], v5, v12
	v_addc_co_u32_e64 v13, s[0:1], v6, v13, s[0:1]
	global_load_dwordx2 v[14:15], v[12:13], off
	s_waitcnt lgkmcnt(0)
	v_mul_f32_e32 v11, s22, v10
	v_mul_f32_e32 v17, s21, v10
	v_fma_f32 v10, s21, v9, -v11
	v_fmac_f32_e32 v17, s22, v9
	s_waitcnt vmcnt(0)
	v_mul_f32_e32 v9, s35, v15
	v_mul_f32_e32 v11, s34, v15
	v_fma_f32 v9, s34, v14, -v9
	v_fmac_f32_e32 v11, s35, v14
	v_add_f32_e32 v10, v10, v9
	v_add_f32_e32 v11, v17, v11
	global_store_dwordx2 v[12:13], v[10:11], off
.LBB14_33:
	s_or_b64 exec, exec, s[4:5]
	ds_bpermute_b32 v0, v8, v0
	ds_bpermute_b32 v2, v8, v2
	s_waitcnt lgkmcnt(3)
	v_or_b32_e32 v9, 2, v7
	v_cmp_lt_i32_e64 s[0:1], v9, v16
	s_and_b64 s[0:1], vcc, s[0:1]
	s_and_saveexec_b64 s[4:5], s[0:1]
	s_cbranch_execz .LBB14_35
; %bb.34:
	s_waitcnt lgkmcnt(2)
	v_mad_u64_u32 v[10:11], s[0:1], v9, s2, v[4:5]
	v_ashrrev_i32_e32 v11, 31, v10
	v_lshlrev_b64 v[10:11], 3, v[10:11]
	v_add_co_u32_e64 v10, s[0:1], v5, v10
	v_addc_co_u32_e64 v11, s[0:1], v6, v11, s[0:1]
	global_load_dwordx2 v[12:13], v[10:11], off
	s_waitcnt lgkmcnt(0)
	v_mul_f32_e32 v9, s22, v2
	v_mul_f32_e32 v2, s21, v2
	v_fma_f32 v9, s21, v0, -v9
	v_fmac_f32_e32 v2, s22, v0
	s_waitcnt vmcnt(0)
	v_mul_f32_e32 v0, s35, v13
	v_mul_f32_e32 v13, s34, v13
	v_fma_f32 v0, s34, v12, -v0
	v_fmac_f32_e32 v13, s35, v12
	v_add_f32_e32 v12, v9, v0
	v_add_f32_e32 v13, v2, v13
	global_store_dwordx2 v[10:11], v[12:13], off
.LBB14_35:
	s_or_b64 exec, exec, s[4:5]
	s_waitcnt lgkmcnt(1)
	ds_bpermute_b32 v0, v8, v1
	ds_bpermute_b32 v1, v8, v3
	s_waitcnt lgkmcnt(2)
	v_or_b32_e32 v2, 3, v7
	v_cmp_lt_i32_e64 s[0:1], v2, v16
	s_and_b64 s[0:1], vcc, s[0:1]
	s_and_b64 exec, exec, s[0:1]
	s_cbranch_execz .LBB14_37
; %bb.36:
	v_mad_u64_u32 v[2:3], s[0:1], v2, s2, v[4:5]
	v_ashrrev_i32_e32 v3, 31, v2
	v_lshlrev_b64 v[2:3], 3, v[2:3]
	v_add_co_u32_e32 v2, vcc, v5, v2
	v_addc_co_u32_e32 v3, vcc, v6, v3, vcc
	global_load_dwordx2 v[4:5], v[2:3], off
	s_waitcnt lgkmcnt(0)
	v_mul_f32_e32 v6, s22, v1
	v_mul_f32_e32 v1, s21, v1
	v_fma_f32 v6, s21, v0, -v6
	v_fmac_f32_e32 v1, s22, v0
	s_waitcnt vmcnt(0)
	v_mul_f32_e32 v0, s35, v5
	v_mul_f32_e32 v5, s34, v5
	v_fma_f32 v0, s34, v4, -v0
	v_fmac_f32_e32 v5, s35, v4
	v_add_f32_e32 v0, v6, v0
	v_add_f32_e32 v1, v1, v5
	global_store_dwordx2 v[2:3], v[0:1], off
.LBB14_37:
	s_endpgm
	.section	.rodata,"a",@progbits
	.p2align	6, 0x0
	.amdhsa_kernel _ZN9rocsolver6v33100L16mfma_gemm_kernelI19rocblas_complex_numIfEiS3_PKPS3_S4_S6_EEv18rocblas_operation_S7_T0_S8_S8_T1_T2_lS8_S8_lT3_lS8_S8_lS9_T4_lS8_S8_l
		.amdhsa_group_segment_fixed_size 20480
		.amdhsa_private_segment_fixed_size 0
		.amdhsa_kernarg_size 392
		.amdhsa_user_sgpr_count 8
		.amdhsa_user_sgpr_private_segment_buffer 1
		.amdhsa_user_sgpr_dispatch_ptr 1
		.amdhsa_user_sgpr_queue_ptr 0
		.amdhsa_user_sgpr_kernarg_segment_ptr 1
		.amdhsa_user_sgpr_dispatch_id 0
		.amdhsa_user_sgpr_flat_scratch_init 0
		.amdhsa_user_sgpr_kernarg_preload_length 0
		.amdhsa_user_sgpr_kernarg_preload_offset 0
		.amdhsa_user_sgpr_private_segment_size 0
		.amdhsa_uses_dynamic_stack 0
		.amdhsa_system_sgpr_private_segment_wavefront_offset 0
		.amdhsa_system_sgpr_workgroup_id_x 1
		.amdhsa_system_sgpr_workgroup_id_y 1
		.amdhsa_system_sgpr_workgroup_id_z 1
		.amdhsa_system_sgpr_workgroup_info 0
		.amdhsa_system_vgpr_workitem_id 2
		.amdhsa_next_free_vgpr 50
		.amdhsa_next_free_sgpr 42
		.amdhsa_accum_offset 52
		.amdhsa_reserve_vcc 1
		.amdhsa_reserve_flat_scratch 0
		.amdhsa_float_round_mode_32 0
		.amdhsa_float_round_mode_16_64 0
		.amdhsa_float_denorm_mode_32 3
		.amdhsa_float_denorm_mode_16_64 3
		.amdhsa_dx10_clamp 1
		.amdhsa_ieee_mode 1
		.amdhsa_fp16_overflow 0
		.amdhsa_tg_split 0
		.amdhsa_exception_fp_ieee_invalid_op 0
		.amdhsa_exception_fp_denorm_src 0
		.amdhsa_exception_fp_ieee_div_zero 0
		.amdhsa_exception_fp_ieee_overflow 0
		.amdhsa_exception_fp_ieee_underflow 0
		.amdhsa_exception_fp_ieee_inexact 0
		.amdhsa_exception_int_div_zero 0
	.end_amdhsa_kernel
	.section	.text._ZN9rocsolver6v33100L16mfma_gemm_kernelI19rocblas_complex_numIfEiS3_PKPS3_S4_S6_EEv18rocblas_operation_S7_T0_S8_S8_T1_T2_lS8_S8_lT3_lS8_S8_lS9_T4_lS8_S8_l,"axG",@progbits,_ZN9rocsolver6v33100L16mfma_gemm_kernelI19rocblas_complex_numIfEiS3_PKPS3_S4_S6_EEv18rocblas_operation_S7_T0_S8_S8_T1_T2_lS8_S8_lT3_lS8_S8_lS9_T4_lS8_S8_l,comdat
.Lfunc_end14:
	.size	_ZN9rocsolver6v33100L16mfma_gemm_kernelI19rocblas_complex_numIfEiS3_PKPS3_S4_S6_EEv18rocblas_operation_S7_T0_S8_S8_T1_T2_lS8_S8_lT3_lS8_S8_lS9_T4_lS8_S8_l, .Lfunc_end14-_ZN9rocsolver6v33100L16mfma_gemm_kernelI19rocblas_complex_numIfEiS3_PKPS3_S4_S6_EEv18rocblas_operation_S7_T0_S8_S8_T1_T2_lS8_S8_lT3_lS8_S8_lS9_T4_lS8_S8_l
                                        ; -- End function
	.section	.AMDGPU.csdata,"",@progbits
; Kernel info:
; codeLenInByte = 2124
; NumSgprs: 46
; NumVgprs: 50
; NumAgprs: 0
; TotalNumVgprs: 50
; ScratchSize: 0
; MemoryBound: 0
; FloatMode: 240
; IeeeMode: 1
; LDSByteSize: 20480 bytes/workgroup (compile time only)
; SGPRBlocks: 5
; VGPRBlocks: 6
; NumSGPRsForWavesPerEU: 46
; NumVGPRsForWavesPerEU: 50
; AccumOffset: 52
; Occupancy: 8
; WaveLimiterHint : 1
; COMPUTE_PGM_RSRC2:SCRATCH_EN: 0
; COMPUTE_PGM_RSRC2:USER_SGPR: 8
; COMPUTE_PGM_RSRC2:TRAP_HANDLER: 0
; COMPUTE_PGM_RSRC2:TGID_X_EN: 1
; COMPUTE_PGM_RSRC2:TGID_Y_EN: 1
; COMPUTE_PGM_RSRC2:TGID_Z_EN: 1
; COMPUTE_PGM_RSRC2:TIDIG_COMP_CNT: 2
; COMPUTE_PGM_RSRC3_GFX90A:ACCUM_OFFSET: 12
; COMPUTE_PGM_RSRC3_GFX90A:TG_SPLIT: 0
	.section	.text._ZN9rocsolver6v33100L11gemm_kernelI19rocblas_complex_numIfEiPKS3_PKPS3_S6_S8_EEvT0_S9_S9_T1_bT2_lS9_S9_lbT3_lS9_S9_lSA_T4_lS9_S9_l,"axG",@progbits,_ZN9rocsolver6v33100L11gemm_kernelI19rocblas_complex_numIfEiPKS3_PKPS3_S6_S8_EEvT0_S9_S9_T1_bT2_lS9_S9_lbT3_lS9_S9_lSA_T4_lS9_S9_l,comdat
	.globl	_ZN9rocsolver6v33100L11gemm_kernelI19rocblas_complex_numIfEiPKS3_PKPS3_S6_S8_EEvT0_S9_S9_T1_bT2_lS9_S9_lbT3_lS9_S9_lSA_T4_lS9_S9_l ; -- Begin function _ZN9rocsolver6v33100L11gemm_kernelI19rocblas_complex_numIfEiPKS3_PKPS3_S6_S8_EEvT0_S9_S9_T1_bT2_lS9_S9_lbT3_lS9_S9_lSA_T4_lS9_S9_l
	.p2align	8
	.type	_ZN9rocsolver6v33100L11gemm_kernelI19rocblas_complex_numIfEiPKS3_PKPS3_S6_S8_EEvT0_S9_S9_T1_bT2_lS9_S9_lbT3_lS9_S9_lSA_T4_lS9_S9_l,@function
_ZN9rocsolver6v33100L11gemm_kernelI19rocblas_complex_numIfEiPKS3_PKPS3_S6_S8_EEvT0_S9_S9_T1_bT2_lS9_S9_lbT3_lS9_S9_lSA_T4_lS9_S9_l: ; @_ZN9rocsolver6v33100L11gemm_kernelI19rocblas_complex_numIfEiPKS3_PKPS3_S6_S8_EEvT0_S9_S9_T1_bT2_lS9_S9_lbT3_lS9_S9_lSA_T4_lS9_S9_l
; %bb.0:
	s_load_dword s9, s[4:5], 0x9c
	s_load_dwordx4 s[0:3], s[4:5], 0x0
	v_and_b32_e32 v1, 0x3ff, v0
	v_bfe_u32 v0, v0, 10, 10
	s_waitcnt lgkmcnt(0)
	s_lshr_b32 s3, s9, 16
	s_and_b32 s9, s9, 0xffff
	s_mul_i32 s6, s6, s9
	s_mul_i32 s7, s7, s3
	v_add_u32_e32 v8, s6, v1
	v_add_u32_e32 v9, s7, v0
	v_cmp_gt_i32_e32 vcc, s0, v8
	v_cmp_gt_i32_e64 s[0:1], s1, v9
	s_and_b64 s[0:1], vcc, s[0:1]
	s_and_saveexec_b64 s[6:7], s[0:1]
	s_cbranch_execz .LBB15_9
; %bb.1:
	s_load_dwordx2 s[10:11], s[4:5], 0x10
	s_load_dwordx8 s[12:19], s[4:5], 0x60
	s_ashr_i32 s9, s8, 31
	s_lshl_b64 s[20:21], s[8:9], 3
	v_mov_b32_e32 v10, 0
	v_mov_b32_e32 v11, 0
	s_waitcnt lgkmcnt(0)
	s_load_dwordx2 s[6:7], s[10:11], 0x0
	s_load_dwordx2 s[0:1], s[14:15], 0x0
	s_add_u32 s10, s16, s20
	s_addc_u32 s11, s17, s21
	s_load_dwordx2 s[10:11], s[10:11], 0x0
	s_cmp_lt_i32 s2, 1
	s_cbranch_scc1 .LBB15_8
; %bb.2:
	s_load_dwordx4 s[24:27], s[4:5], 0x20
	s_load_dword s3, s[4:5], 0x18
	s_load_dwordx2 s[14:15], s[4:5], 0x30
	s_load_dword s22, s[4:5], 0x40
	s_mul_i32 s13, s8, s13
	s_waitcnt lgkmcnt(0)
	s_add_u32 s16, s24, s20
	s_addc_u32 s17, s25, s21
	s_load_dwordx2 s[24:25], s[16:17], 0x0
	s_bitcmp1_b32 s3, 0
	s_cselect_b64 s[16:17], -1, 0
	s_xor_b64 s[16:17], s[16:17], -1
	s_bitcmp1_b32 s22, 0
	s_cselect_b64 s[20:21], -1, 0
	s_lshl_b64 s[26:27], s[26:27], 3
	s_waitcnt lgkmcnt(0)
	s_add_u32 s3, s24, s26
	s_load_dwordx4 s[28:31], s[4:5], 0x48
	s_load_dwordx2 s[22:23], s[4:5], 0x58
	s_addc_u32 s24, s25, s27
	s_mul_hi_u32 s25, s8, s12
	s_add_i32 s13, s25, s13
	s_mul_i32 s9, s9, s12
	s_add_i32 s9, s13, s9
	s_mul_i32 s8, s8, s12
	s_lshl_b64 s[8:9], s[8:9], 3
	s_waitcnt lgkmcnt(0)
	s_add_u32 s12, s28, s8
	s_addc_u32 s13, s29, s9
	s_lshl_b64 s[8:9], s[30:31], 3
	s_add_u32 s12, s12, s8
	s_addc_u32 s8, s13, s9
	v_mul_lo_u32 v0, v8, s14
	v_mul_lo_u32 v2, v9, s23
	v_mov_b32_e32 v10, 0
	v_mov_b32_e32 v12, s24
	;; [unrolled: 1-line block ×4, first 2 shown]
	s_branch .LBB15_4
.LBB15_3:                               ;   in Loop: Header=BB15_4 Depth=1
	v_ashrrev_i32_e32 v3, 31, v2
	v_lshlrev_b64 v[6:7], 3, v[2:3]
	v_add_co_u32_e32 v6, vcc, s12, v6
	v_addc_co_u32_e32 v7, vcc, v13, v7, vcc
	global_load_dwordx2 v[6:7], v[6:7], off
	s_add_i32 s2, s2, -1
	v_add_u32_e32 v2, s22, v2
	s_cmp_eq_u32 s2, 0
	v_add_u32_e32 v0, s15, v0
	s_waitcnt vmcnt(0)
	v_cndmask_b32_e64 v1, v7, -v7, s[20:21]
	v_mul_f32_e32 v3, v6, v5
	v_mul_f32_e32 v5, v1, v5
	v_fmac_f32_e32 v3, v1, v4
	v_fma_f32 v1, v6, v4, -v5
	v_add_f32_e32 v10, v10, v3
	v_add_f32_e32 v11, v11, v1
	s_cbranch_scc1 .LBB15_8
.LBB15_4:                               ; =>This Inner Loop Header: Depth=1
	v_ashrrev_i32_e32 v1, 31, v0
	v_lshlrev_b64 v[4:5], 3, v[0:1]
	v_add_co_u32_e32 v6, vcc, s3, v4
	v_addc_co_u32_e32 v7, vcc, v12, v5, vcc
	s_and_b64 vcc, exec, s[16:17]
	s_cbranch_vccz .LBB15_6
; %bb.5:                                ;   in Loop: Header=BB15_4 Depth=1
	global_load_dwordx2 v[4:5], v[6:7], off
	s_cbranch_execnz .LBB15_3
	s_branch .LBB15_7
.LBB15_6:                               ;   in Loop: Header=BB15_4 Depth=1
                                        ; implicit-def: $vgpr5
.LBB15_7:                               ;   in Loop: Header=BB15_4 Depth=1
	global_load_dwordx2 v[4:5], v[6:7], off
	s_waitcnt vmcnt(0)
	v_xor_b32_e32 v5, 0x80000000, v5
	s_branch .LBB15_3
.LBB15_8:
	s_load_dwordx2 s[2:3], s[4:5], 0x80
	s_lshl_b64 s[4:5], s[18:19], 3
	s_waitcnt lgkmcnt(0)
	s_add_u32 s4, s10, s4
	s_addc_u32 s5, s11, s5
	v_mov_b32_e32 v2, s5
	v_mul_lo_u32 v0, v8, s2
	v_mad_u64_u32 v[0:1], s[2:3], v9, s3, v[0:1]
	v_ashrrev_i32_e32 v1, 31, v0
	v_lshlrev_b64 v[0:1], 3, v[0:1]
	v_add_co_u32_e32 v0, vcc, s4, v0
	v_addc_co_u32_e32 v1, vcc, v2, v1, vcc
	global_load_dwordx2 v[2:3], v[0:1], off
	v_mul_f32_e32 v4, s7, v10
	v_mul_f32_e32 v5, s6, v10
	v_fma_f32 v4, s6, v11, -v4
	v_fmac_f32_e32 v5, s7, v11
	s_waitcnt vmcnt(0)
	v_mul_f32_e32 v6, s1, v3
	v_mul_f32_e32 v3, s0, v3
	v_fma_f32 v6, s0, v2, -v6
	v_fmac_f32_e32 v3, s1, v2
	v_add_f32_e32 v2, v4, v6
	v_add_f32_e32 v3, v5, v3
	global_store_dwordx2 v[0:1], v[2:3], off
.LBB15_9:
	s_endpgm
	.section	.rodata,"a",@progbits
	.p2align	6, 0x0
	.amdhsa_kernel _ZN9rocsolver6v33100L11gemm_kernelI19rocblas_complex_numIfEiPKS3_PKPS3_S6_S8_EEvT0_S9_S9_T1_bT2_lS9_S9_lbT3_lS9_S9_lSA_T4_lS9_S9_l
		.amdhsa_group_segment_fixed_size 0
		.amdhsa_private_segment_fixed_size 0
		.amdhsa_kernarg_size 400
		.amdhsa_user_sgpr_count 6
		.amdhsa_user_sgpr_private_segment_buffer 1
		.amdhsa_user_sgpr_dispatch_ptr 0
		.amdhsa_user_sgpr_queue_ptr 0
		.amdhsa_user_sgpr_kernarg_segment_ptr 1
		.amdhsa_user_sgpr_dispatch_id 0
		.amdhsa_user_sgpr_flat_scratch_init 0
		.amdhsa_user_sgpr_kernarg_preload_length 0
		.amdhsa_user_sgpr_kernarg_preload_offset 0
		.amdhsa_user_sgpr_private_segment_size 0
		.amdhsa_uses_dynamic_stack 0
		.amdhsa_system_sgpr_private_segment_wavefront_offset 0
		.amdhsa_system_sgpr_workgroup_id_x 1
		.amdhsa_system_sgpr_workgroup_id_y 1
		.amdhsa_system_sgpr_workgroup_id_z 1
		.amdhsa_system_sgpr_workgroup_info 0
		.amdhsa_system_vgpr_workitem_id 1
		.amdhsa_next_free_vgpr 14
		.amdhsa_next_free_sgpr 32
		.amdhsa_accum_offset 16
		.amdhsa_reserve_vcc 1
		.amdhsa_reserve_flat_scratch 0
		.amdhsa_float_round_mode_32 0
		.amdhsa_float_round_mode_16_64 0
		.amdhsa_float_denorm_mode_32 3
		.amdhsa_float_denorm_mode_16_64 3
		.amdhsa_dx10_clamp 1
		.amdhsa_ieee_mode 1
		.amdhsa_fp16_overflow 0
		.amdhsa_tg_split 0
		.amdhsa_exception_fp_ieee_invalid_op 0
		.amdhsa_exception_fp_denorm_src 0
		.amdhsa_exception_fp_ieee_div_zero 0
		.amdhsa_exception_fp_ieee_overflow 0
		.amdhsa_exception_fp_ieee_underflow 0
		.amdhsa_exception_fp_ieee_inexact 0
		.amdhsa_exception_int_div_zero 0
	.end_amdhsa_kernel
	.section	.text._ZN9rocsolver6v33100L11gemm_kernelI19rocblas_complex_numIfEiPKS3_PKPS3_S6_S8_EEvT0_S9_S9_T1_bT2_lS9_S9_lbT3_lS9_S9_lSA_T4_lS9_S9_l,"axG",@progbits,_ZN9rocsolver6v33100L11gemm_kernelI19rocblas_complex_numIfEiPKS3_PKPS3_S6_S8_EEvT0_S9_S9_T1_bT2_lS9_S9_lbT3_lS9_S9_lSA_T4_lS9_S9_l,comdat
.Lfunc_end15:
	.size	_ZN9rocsolver6v33100L11gemm_kernelI19rocblas_complex_numIfEiPKS3_PKPS3_S6_S8_EEvT0_S9_S9_T1_bT2_lS9_S9_lbT3_lS9_S9_lSA_T4_lS9_S9_l, .Lfunc_end15-_ZN9rocsolver6v33100L11gemm_kernelI19rocblas_complex_numIfEiPKS3_PKPS3_S6_S8_EEvT0_S9_S9_T1_bT2_lS9_S9_lbT3_lS9_S9_lSA_T4_lS9_S9_l
                                        ; -- End function
	.section	.AMDGPU.csdata,"",@progbits
; Kernel info:
; codeLenInByte = 648
; NumSgprs: 36
; NumVgprs: 14
; NumAgprs: 0
; TotalNumVgprs: 14
; ScratchSize: 0
; MemoryBound: 0
; FloatMode: 240
; IeeeMode: 1
; LDSByteSize: 0 bytes/workgroup (compile time only)
; SGPRBlocks: 4
; VGPRBlocks: 1
; NumSGPRsForWavesPerEU: 36
; NumVGPRsForWavesPerEU: 14
; AccumOffset: 16
; Occupancy: 8
; WaveLimiterHint : 1
; COMPUTE_PGM_RSRC2:SCRATCH_EN: 0
; COMPUTE_PGM_RSRC2:USER_SGPR: 6
; COMPUTE_PGM_RSRC2:TRAP_HANDLER: 0
; COMPUTE_PGM_RSRC2:TGID_X_EN: 1
; COMPUTE_PGM_RSRC2:TGID_Y_EN: 1
; COMPUTE_PGM_RSRC2:TGID_Z_EN: 1
; COMPUTE_PGM_RSRC2:TIDIG_COMP_CNT: 1
; COMPUTE_PGM_RSRC3_GFX90A:ACCUM_OFFSET: 3
; COMPUTE_PGM_RSRC3_GFX90A:TG_SPLIT: 0
	.section	.text._ZN9rocsolver6v33100L11gemm_kernelI19rocblas_complex_numIfEiS3_PKPS3_S4_S6_EEvT0_S7_S7_T1_bT2_lS7_S7_lbT3_lS7_S7_lS8_T4_lS7_S7_l,"axG",@progbits,_ZN9rocsolver6v33100L11gemm_kernelI19rocblas_complex_numIfEiS3_PKPS3_S4_S6_EEvT0_S7_S7_T1_bT2_lS7_S7_lbT3_lS7_S7_lS8_T4_lS7_S7_l,comdat
	.globl	_ZN9rocsolver6v33100L11gemm_kernelI19rocblas_complex_numIfEiS3_PKPS3_S4_S6_EEvT0_S7_S7_T1_bT2_lS7_S7_lbT3_lS7_S7_lS8_T4_lS7_S7_l ; -- Begin function _ZN9rocsolver6v33100L11gemm_kernelI19rocblas_complex_numIfEiS3_PKPS3_S4_S6_EEvT0_S7_S7_T1_bT2_lS7_S7_lbT3_lS7_S7_lS8_T4_lS7_S7_l
	.p2align	8
	.type	_ZN9rocsolver6v33100L11gemm_kernelI19rocblas_complex_numIfEiS3_PKPS3_S4_S6_EEvT0_S7_S7_T1_bT2_lS7_S7_lbT3_lS7_S7_lS8_T4_lS7_S7_l,@function
_ZN9rocsolver6v33100L11gemm_kernelI19rocblas_complex_numIfEiS3_PKPS3_S4_S6_EEvT0_S7_S7_T1_bT2_lS7_S7_lbT3_lS7_S7_lS8_T4_lS7_S7_l: ; @_ZN9rocsolver6v33100L11gemm_kernelI19rocblas_complex_numIfEiS3_PKPS3_S4_S6_EEvT0_S7_S7_T1_bT2_lS7_S7_lbT3_lS7_S7_lS8_T4_lS7_S7_l
; %bb.0:
	s_load_dword s9, s[4:5], 0x94
	s_load_dwordx4 s[0:3], s[4:5], 0x0
	v_and_b32_e32 v1, 0x3ff, v0
	v_bfe_u32 v0, v0, 10, 10
	s_waitcnt lgkmcnt(0)
	s_lshr_b32 s10, s9, 16
	s_and_b32 s9, s9, 0xffff
	s_mul_i32 s6, s6, s9
	s_mul_i32 s7, s7, s10
	v_add_u32_e32 v8, s6, v1
	v_add_u32_e32 v9, s7, v0
	v_cmp_gt_i32_e32 vcc, s0, v8
	v_cmp_gt_i32_e64 s[0:1], s1, v9
	s_and_b64 s[0:1], vcc, s[0:1]
	s_and_saveexec_b64 s[6:7], s[0:1]
	s_cbranch_execz .LBB16_9
; %bb.1:
	s_load_dwordx4 s[20:23], s[4:5], 0x68
	s_load_dwordx2 s[6:7], s[4:5], 0x10
	s_load_dwordx2 s[0:1], s[4:5], 0x60
	s_ashr_i32 s9, s8, 31
	s_lshl_b64 s[24:25], s[8:9], 3
	s_waitcnt lgkmcnt(0)
	s_add_u32 s10, s20, s24
	s_addc_u32 s11, s21, s25
	s_load_dwordx2 s[10:11], s[10:11], 0x0
	s_cmp_lt_i32 s2, 1
	v_mov_b32_e32 v10, 0
	v_mov_b32_e32 v11, 0
	s_cbranch_scc1 .LBB16_8
; %bb.2:
	s_load_dwordx4 s[28:31], s[4:5], 0x18
	s_load_dwordx2 s[20:21], s[4:5], 0x28
	s_load_dword s26, s[4:5], 0x38
	s_load_dwordx8 s[12:19], s[4:5], 0x40
	v_mov_b32_e32 v10, 0
	s_waitcnt lgkmcnt(0)
	s_add_u32 s24, s28, s24
	s_addc_u32 s25, s29, s25
	s_load_dwordx2 s[28:29], s[24:25], 0x0
	s_bitcmp1_b32 s7, 0
	s_cselect_b64 s[24:25], -1, 0
	s_xor_b64 s[24:25], s[24:25], -1
	s_bitcmp1_b32 s26, 0
	s_cselect_b64 s[26:27], -1, 0
	s_lshl_b64 s[30:31], s[30:31], 3
	s_waitcnt lgkmcnt(0)
	s_add_u32 s7, s28, s30
	s_addc_u32 s28, s29, s31
	s_mul_i32 s19, s8, s19
	s_mul_hi_u32 s29, s8, s18
	s_add_i32 s19, s29, s19
	s_mul_i32 s9, s9, s18
	s_add_i32 s9, s19, s9
	s_mul_i32 s8, s8, s18
	s_lshl_b64 s[8:9], s[8:9], 3
	s_add_u32 s12, s12, s8
	s_addc_u32 s13, s13, s9
	s_lshl_b64 s[8:9], s[14:15], 3
	s_add_u32 s12, s12, s8
	s_addc_u32 s8, s13, s9
	v_mul_lo_u32 v0, v8, s20
	v_mul_lo_u32 v2, v9, s17
	v_mov_b32_e32 v12, s28
	v_mov_b32_e32 v13, s8
	;; [unrolled: 1-line block ×3, first 2 shown]
	s_branch .LBB16_4
.LBB16_3:                               ;   in Loop: Header=BB16_4 Depth=1
	v_ashrrev_i32_e32 v3, 31, v2
	v_lshlrev_b64 v[6:7], 3, v[2:3]
	v_add_co_u32_e32 v6, vcc, s12, v6
	v_addc_co_u32_e32 v7, vcc, v13, v7, vcc
	global_load_dwordx2 v[6:7], v[6:7], off
	s_add_i32 s2, s2, -1
	v_add_u32_e32 v2, s16, v2
	s_cmp_eq_u32 s2, 0
	v_add_u32_e32 v0, s21, v0
	s_waitcnt vmcnt(0)
	v_cndmask_b32_e64 v1, v7, -v7, s[26:27]
	v_mul_f32_e32 v3, v6, v5
	v_mul_f32_e32 v5, v1, v5
	v_fmac_f32_e32 v3, v1, v4
	v_fma_f32 v1, v6, v4, -v5
	v_add_f32_e32 v10, v10, v3
	v_add_f32_e32 v11, v11, v1
	s_cbranch_scc1 .LBB16_8
.LBB16_4:                               ; =>This Inner Loop Header: Depth=1
	v_ashrrev_i32_e32 v1, 31, v0
	v_lshlrev_b64 v[4:5], 3, v[0:1]
	v_add_co_u32_e32 v6, vcc, s7, v4
	v_addc_co_u32_e32 v7, vcc, v12, v5, vcc
	s_and_b64 vcc, exec, s[24:25]
	s_cbranch_vccz .LBB16_6
; %bb.5:                                ;   in Loop: Header=BB16_4 Depth=1
	global_load_dwordx2 v[4:5], v[6:7], off
	s_cbranch_execnz .LBB16_3
	s_branch .LBB16_7
.LBB16_6:                               ;   in Loop: Header=BB16_4 Depth=1
                                        ; implicit-def: $vgpr5
.LBB16_7:                               ;   in Loop: Header=BB16_4 Depth=1
	global_load_dwordx2 v[4:5], v[6:7], off
	s_waitcnt vmcnt(0)
	v_xor_b32_e32 v5, 0x80000000, v5
	s_branch .LBB16_3
.LBB16_8:
	s_load_dwordx2 s[4:5], s[4:5], 0x78
	s_lshl_b64 s[8:9], s[22:23], 3
	s_waitcnt lgkmcnt(0)
	s_add_u32 s2, s10, s8
	s_addc_u32 s7, s11, s9
	v_mov_b32_e32 v2, s7
	v_mul_lo_u32 v0, v8, s4
	v_mad_u64_u32 v[0:1], s[4:5], v9, s5, v[0:1]
	v_ashrrev_i32_e32 v1, 31, v0
	v_lshlrev_b64 v[0:1], 3, v[0:1]
	v_add_co_u32_e32 v0, vcc, s2, v0
	v_addc_co_u32_e32 v1, vcc, v2, v1, vcc
	global_load_dwordx2 v[2:3], v[0:1], off
	v_mul_f32_e32 v4, s6, v10
	v_mul_f32_e32 v5, s3, v10
	v_fma_f32 v4, s3, v11, -v4
	v_fmac_f32_e32 v5, s6, v11
	s_waitcnt vmcnt(0)
	v_mul_f32_e32 v6, s1, v3
	v_mul_f32_e32 v3, s0, v3
	v_fma_f32 v6, s0, v2, -v6
	v_fmac_f32_e32 v3, s1, v2
	v_add_f32_e32 v2, v4, v6
	v_add_f32_e32 v3, v5, v3
	global_store_dwordx2 v[0:1], v[2:3], off
.LBB16_9:
	s_endpgm
	.section	.rodata,"a",@progbits
	.p2align	6, 0x0
	.amdhsa_kernel _ZN9rocsolver6v33100L11gemm_kernelI19rocblas_complex_numIfEiS3_PKPS3_S4_S6_EEvT0_S7_S7_T1_bT2_lS7_S7_lbT3_lS7_S7_lS8_T4_lS7_S7_l
		.amdhsa_group_segment_fixed_size 0
		.amdhsa_private_segment_fixed_size 0
		.amdhsa_kernarg_size 392
		.amdhsa_user_sgpr_count 6
		.amdhsa_user_sgpr_private_segment_buffer 1
		.amdhsa_user_sgpr_dispatch_ptr 0
		.amdhsa_user_sgpr_queue_ptr 0
		.amdhsa_user_sgpr_kernarg_segment_ptr 1
		.amdhsa_user_sgpr_dispatch_id 0
		.amdhsa_user_sgpr_flat_scratch_init 0
		.amdhsa_user_sgpr_kernarg_preload_length 0
		.amdhsa_user_sgpr_kernarg_preload_offset 0
		.amdhsa_user_sgpr_private_segment_size 0
		.amdhsa_uses_dynamic_stack 0
		.amdhsa_system_sgpr_private_segment_wavefront_offset 0
		.amdhsa_system_sgpr_workgroup_id_x 1
		.amdhsa_system_sgpr_workgroup_id_y 1
		.amdhsa_system_sgpr_workgroup_id_z 1
		.amdhsa_system_sgpr_workgroup_info 0
		.amdhsa_system_vgpr_workitem_id 1
		.amdhsa_next_free_vgpr 14
		.amdhsa_next_free_sgpr 32
		.amdhsa_accum_offset 16
		.amdhsa_reserve_vcc 1
		.amdhsa_reserve_flat_scratch 0
		.amdhsa_float_round_mode_32 0
		.amdhsa_float_round_mode_16_64 0
		.amdhsa_float_denorm_mode_32 3
		.amdhsa_float_denorm_mode_16_64 3
		.amdhsa_dx10_clamp 1
		.amdhsa_ieee_mode 1
		.amdhsa_fp16_overflow 0
		.amdhsa_tg_split 0
		.amdhsa_exception_fp_ieee_invalid_op 0
		.amdhsa_exception_fp_denorm_src 0
		.amdhsa_exception_fp_ieee_div_zero 0
		.amdhsa_exception_fp_ieee_overflow 0
		.amdhsa_exception_fp_ieee_underflow 0
		.amdhsa_exception_fp_ieee_inexact 0
		.amdhsa_exception_int_div_zero 0
	.end_amdhsa_kernel
	.section	.text._ZN9rocsolver6v33100L11gemm_kernelI19rocblas_complex_numIfEiS3_PKPS3_S4_S6_EEvT0_S7_S7_T1_bT2_lS7_S7_lbT3_lS7_S7_lS8_T4_lS7_S7_l,"axG",@progbits,_ZN9rocsolver6v33100L11gemm_kernelI19rocblas_complex_numIfEiS3_PKPS3_S4_S6_EEvT0_S7_S7_T1_bT2_lS7_S7_lbT3_lS7_S7_lS8_T4_lS7_S7_l,comdat
.Lfunc_end16:
	.size	_ZN9rocsolver6v33100L11gemm_kernelI19rocblas_complex_numIfEiS3_PKPS3_S4_S6_EEvT0_S7_S7_T1_bT2_lS7_S7_lbT3_lS7_S7_lS8_T4_lS7_S7_l, .Lfunc_end16-_ZN9rocsolver6v33100L11gemm_kernelI19rocblas_complex_numIfEiS3_PKPS3_S4_S6_EEvT0_S7_S7_T1_bT2_lS7_S7_lbT3_lS7_S7_lS8_T4_lS7_S7_l
                                        ; -- End function
	.section	.AMDGPU.csdata,"",@progbits
; Kernel info:
; codeLenInByte = 620
; NumSgprs: 36
; NumVgprs: 14
; NumAgprs: 0
; TotalNumVgprs: 14
; ScratchSize: 0
; MemoryBound: 0
; FloatMode: 240
; IeeeMode: 1
; LDSByteSize: 0 bytes/workgroup (compile time only)
; SGPRBlocks: 4
; VGPRBlocks: 1
; NumSGPRsForWavesPerEU: 36
; NumVGPRsForWavesPerEU: 14
; AccumOffset: 16
; Occupancy: 8
; WaveLimiterHint : 1
; COMPUTE_PGM_RSRC2:SCRATCH_EN: 0
; COMPUTE_PGM_RSRC2:USER_SGPR: 6
; COMPUTE_PGM_RSRC2:TRAP_HANDLER: 0
; COMPUTE_PGM_RSRC2:TGID_X_EN: 1
; COMPUTE_PGM_RSRC2:TGID_Y_EN: 1
; COMPUTE_PGM_RSRC2:TGID_Z_EN: 1
; COMPUTE_PGM_RSRC2:TIDIG_COMP_CNT: 1
; COMPUTE_PGM_RSRC3_GFX90A:ACCUM_OFFSET: 3
; COMPUTE_PGM_RSRC3_GFX90A:TG_SPLIT: 0
	.section	.text._ZN9rocsolver6v33100L16mfma_gemm_kernelI19rocblas_complex_numIfEiPKS3_PKPS3_S8_S6_EEv18rocblas_operation_S9_T0_SA_SA_T1_T2_lSA_SA_lT3_lSA_SA_lSB_T4_lSA_SA_l,"axG",@progbits,_ZN9rocsolver6v33100L16mfma_gemm_kernelI19rocblas_complex_numIfEiPKS3_PKPS3_S8_S6_EEv18rocblas_operation_S9_T0_SA_SA_T1_T2_lSA_SA_lT3_lSA_SA_lSB_T4_lSA_SA_l,comdat
	.globl	_ZN9rocsolver6v33100L16mfma_gemm_kernelI19rocblas_complex_numIfEiPKS3_PKPS3_S8_S6_EEv18rocblas_operation_S9_T0_SA_SA_T1_T2_lSA_SA_lT3_lSA_SA_lSB_T4_lSA_SA_l ; -- Begin function _ZN9rocsolver6v33100L16mfma_gemm_kernelI19rocblas_complex_numIfEiPKS3_PKPS3_S8_S6_EEv18rocblas_operation_S9_T0_SA_SA_T1_T2_lSA_SA_lT3_lSA_SA_lSB_T4_lSA_SA_l
	.p2align	8
	.type	_ZN9rocsolver6v33100L16mfma_gemm_kernelI19rocblas_complex_numIfEiPKS3_PKPS3_S8_S6_EEv18rocblas_operation_S9_T0_SA_SA_T1_T2_lSA_SA_lT3_lSA_SA_lSB_T4_lSA_SA_l,@function
_ZN9rocsolver6v33100L16mfma_gemm_kernelI19rocblas_complex_numIfEiPKS3_PKPS3_S8_S6_EEv18rocblas_operation_S9_T0_SA_SA_T1_T2_lSA_SA_lT3_lSA_SA_lSB_T4_lSA_SA_l: ; @_ZN9rocsolver6v33100L16mfma_gemm_kernelI19rocblas_complex_numIfEiPKS3_PKPS3_S8_S6_EEv18rocblas_operation_S9_T0_SA_SA_T1_T2_lSA_SA_lT3_lSA_SA_lSB_T4_lSA_SA_l
; %bb.0:
	s_load_dword s0, s[6:7], 0x94
	s_load_dwordx4 s[16:19], s[6:7], 0x0
	v_and_b32_e32 v17, 0x3ff, v0
	v_bfe_u32 v1, v0, 10, 10
	v_lshrrev_b32_e32 v2, 6, v17
	s_waitcnt lgkmcnt(0)
	s_lshr_b32 s1, s0, 16
	s_bfe_u32 s0, s0, 0xa0006
	s_mul_i32 s8, s8, s0
	s_mul_i32 s9, s9, s1
	v_add_lshl_u32 v18, s8, v2, 4
	v_add_u32_e32 v2, s9, v1
	v_lshlrev_b32_e32 v19, 4, v2
	v_cmp_gt_i32_e32 vcc, s18, v18
	v_cmp_gt_i32_e64 s[0:1], s19, v19
	s_and_b64 s[0:1], vcc, s[0:1]
	s_and_saveexec_b64 s[2:3], s[0:1]
	s_cbranch_execz .LBB17_37
; %bb.1:
	s_load_dwordx2 s[8:9], s[4:5], 0x4
	s_load_dword s33, s[6:7], 0x10
	s_load_dwordx4 s[0:3], s[6:7], 0x18
	s_load_dwordx2 s[26:27], s[6:7], 0x70
	s_load_dwordx4 s[12:15], s[6:7], 0x60
	s_waitcnt lgkmcnt(0)
	s_lshr_b32 s4, s8, 16
	s_mul_i32 s4, s4, s9
	v_mul_lo_u32 v2, s4, v17
	s_ashr_i32 s4, s18, 31
	s_lshr_b32 s4, s4, 28
	s_add_i32 s4, s18, s4
	s_and_b32 s4, s4, -16
	v_mul_u32_u24_e32 v1, s9, v1
	v_bfe_u32 v0, v0, 20, 10
	s_sub_i32 s4, s18, s4
	v_add3_u32 v0, v2, v1, v0
	v_mov_b32_e32 v1, s4
	s_ashr_i32 s4, s19, 31
	s_lshr_b32 s4, s4, 28
	v_mul_lo_u32 v24, v0, 20
	v_add_u32_e32 v0, 16, v18
	s_add_i32 s4, s19, s4
	v_cmp_lt_i32_e32 vcc, s18, v0
	v_add_u32_e32 v0, 16, v19
	s_and_b32 s4, s4, -16
	v_cndmask_b32_e32 v16, 16, v1, vcc
	s_sub_i32 s4, s19, s4
	v_cmp_lt_i32_e32 vcc, s19, v0
	s_load_dwordx2 s[24:25], s[0:1], 0x0
	s_load_dwordx2 s[18:19], s[12:13], 0x0
	v_mov_b32_e32 v1, s4
	v_cndmask_b32_e32 v20, 16, v1, vcc
	s_ashr_i32 s11, s10, 31
	v_bfe_u32 v21, v17, 2, 4
	v_and_b32_e32 v22, 3, v17
	s_cmp_lt_i32 s33, 1
	v_mov_b32_e32 v1, 0
	s_mov_b32 s34, 0
	v_cmp_lt_i32_e64 s[0:1], v21, v20
	v_mbcnt_lo_u32_b32 v23, -1, 0
	v_mov_b32_e32 v2, 0
	v_mov_b32_e32 v13, 0
	;; [unrolled: 1-line block ×7, first 2 shown]
	ds_write2_b32 v24, v1, v1 offset0:2 offset1:3
	ds_write2_b32 v24, v1, v1 offset1:1
	ds_write_b32 v24, v1 offset:16
	s_cbranch_scc1 .LBB17_29
; %bb.2:
	s_lshl_b64 s[4:5], s[10:11], 3
	s_add_u32 s2, s2, s4
	s_addc_u32 s3, s3, s5
	s_load_dwordx4 s[20:23], s[6:7], 0x28
	s_load_dwordx2 s[8:9], s[2:3], 0x0
	s_load_dwordx4 s[28:31], s[6:7], 0x40
	s_load_dwordx2 s[38:39], s[6:7], 0x50
	v_and_b32_e32 v2, 63, v17
	s_waitcnt lgkmcnt(0)
	s_lshl_b64 s[2:3], s[20:21], 3
	s_add_u32 s8, s8, s2
	s_addc_u32 s9, s9, s3
	s_add_u32 s2, s28, s4
	s_addc_u32 s3, s29, s5
	s_load_dwordx2 s[2:3], s[2:3], 0x0
	s_lshl_b64 s[4:5], s[30:31], 3
	v_mov_b32_e32 v3, s9
	v_lshrrev_b32_e32 v29, 4, v2
	s_waitcnt lgkmcnt(0)
	s_add_u32 s2, s2, s4
	s_addc_u32 s3, s3, s5
	s_cmpk_lg_i32 s16, 0x6f
	s_cselect_b64 s[12:13], -1, 0
	s_cmpk_eq_i32 s16, 0x6f
	s_cselect_b32 s4, s22, s23
	v_mul_lo_u32 v0, v18, s4
	s_cmpk_lg_i32 s17, 0x6f
	v_ashrrev_i32_e32 v1, 31, v0
	s_cselect_b64 s[20:21], -1, 0
	s_cmpk_eq_i32 s17, 0x6f
	v_lshlrev_b64 v[0:1], 3, v[0:1]
	s_cselect_b32 s4, s39, s38
	v_add_co_u32_e32 v25, vcc, s8, v0
	v_mul_lo_u32 v0, v19, s4
	v_addc_co_u32_e32 v26, vcc, v3, v1, vcc
	v_ashrrev_i32_e32 v1, 31, v0
	v_lshlrev_b64 v[0:1], 3, v[0:1]
	v_mov_b32_e32 v3, s3
	v_add_co_u32_e32 v27, vcc, s2, v0
	v_addc_co_u32_e32 v28, vcc, v3, v1, vcc
	v_and_b32_e32 v1, 15, v17
	v_mul_lo_u32 v0, v1, s22
	s_cmpk_eq_i32 s16, 0x71
	v_mad_u64_u32 v[4:5], s[30:31], s23, v29, v[0:1]
	v_mul_lo_u32 v0, s22, v22
	s_cselect_b64 s[28:29], -1, 0
	s_cmpk_eq_i32 s17, 0x71
	v_mad_u64_u32 v[6:7], s[30:31], v21, s23, v[0:1]
	v_mul_lo_u32 v0, s38, v22
	v_lshl_or_b32 v3, v1, 2, v29
	v_cmp_lt_i32_e64 s[4:5], v1, v16
	v_cmp_lt_i32_e64 s[8:9], v1, v20
	v_mul_lo_u32 v2, v1, s38
	s_cselect_b64 s[16:17], -1, 0
	s_lshl_b32 s35, s23, 2
	s_lshl_b32 s36, s22, 2
	v_mad_u64_u32 v[8:9], s[22:23], v21, s39, v[0:1]
	v_mbcnt_hi_u32_b32 v1, -1, v23
	v_mov_b32_e32 v0, 0
	v_and_or_b32 v1, v1, 64, v3
	v_cmp_lt_i32_e64 s[2:3], v21, v16
	s_lshl_b32 s37, s38, 2
	v_mad_u64_u32 v[10:11], s[22:23], s39, v29, v[2:3]
	s_lshl_b32 s38, s39, 2
	v_lshlrev_b32_e32 v30, 2, v1
	v_mov_b32_e32 v3, v0
	v_mov_b32_e32 v2, v0
	;; [unrolled: 1-line block ×3, first 2 shown]
	s_branch .LBB17_6
.LBB17_3:                               ;   in Loop: Header=BB17_6 Depth=1
	s_or_b64 exec, exec, s[30:31]
.LBB17_4:                               ;   in Loop: Header=BB17_6 Depth=1
	s_or_b64 exec, exec, s[22:23]
	s_waitcnt vmcnt(0)
	ds_bpermute_b32 v14, v30, v14
	ds_bpermute_b32 v15, v30, v15
.LBB17_5:                               ;   in Loop: Header=BB17_6 Depth=1
	s_waitcnt vmcnt(0) lgkmcnt(0)
	v_cndmask_b32_e64 v7, v13, -v13, s[28:29]
	v_cndmask_b32_e64 v5, v15, -v15, s[16:17]
	v_mfma_f32_16x16x4f32 v[32:35], v12, v14, 0
	s_add_i32 s34, s34, 4
	v_add_u32_e32 v4, s35, v4
	v_add_u32_e32 v6, s36, v6
	;; [unrolled: 1-line block ×3, first 2 shown]
	s_cmp_ge_i32 s34, s33
	v_add_u32_e32 v10, s38, v10
	v_mfma_f32_16x16x4f32 v[40:43], v7, v5, 0
	v_mfma_f32_16x16x4f32 v[36:39], v12, v5, 0
	ds_read2_b32 v[12:13], v24 offset1:1
	ds_read2_b32 v[44:45], v24 offset0:3 offset1:4
	ds_read2_b32 v[46:47], v24 offset0:2 offset1:3
	;; [unrolled: 1-line block ×3, first 2 shown]
	s_nop 5
	v_sub_f32_e32 v35, v35, v43
	v_sub_f32_e32 v34, v34, v42
	;; [unrolled: 1-line block ×4, first 2 shown]
	s_waitcnt lgkmcnt(1)
	v_mov_b32_e32 v13, v46
	v_pk_add_f32 v[12:13], v[12:13], v[32:33]
	v_pk_add_f32 v[0:1], v[0:1], v[34:35]
	v_mfma_f32_16x16x4f32 v[32:35], v7, v14, 0
	s_waitcnt lgkmcnt(0)
	v_mov_b32_e32 v49, v44
	s_nop 7
	s_nop 0
	v_pk_add_f32 v[14:15], v[38:39], v[34:35]
	v_pk_add_f32 v[32:33], v[36:37], v[32:33]
	;; [unrolled: 1-line block ×4, first 2 shown]
	ds_write2_b32 v24, v12, v14 offset1:1
	v_mov_b32_e32 v12, v13
	v_mov_b32_e32 v5, v15
	ds_write2_b32 v24, v13, v15 offset0:2 offset1:3
	ds_write_b32 v24, v0 offset:16
	s_cbranch_scc1 .LBB17_28
.LBB17_6:                               ; =>This Inner Loop Header: Depth=1
	s_and_b64 vcc, exec, s[12:13]
	s_cbranch_vccz .LBB17_18
; %bb.7:                                ;   in Loop: Header=BB17_6 Depth=1
	v_mov_b32_e32 v12, 0
	v_mov_b32_e32 v13, 0
	s_and_saveexec_b64 s[22:23], s[2:3]
	s_cbranch_execz .LBB17_11
; %bb.8:                                ;   in Loop: Header=BB17_6 Depth=1
	v_add_u32_e32 v5, s34, v22
	v_cmp_gt_i32_e32 vcc, s33, v5
	v_mov_b32_e32 v13, 0
	v_mov_b32_e32 v12, 0
	s_and_saveexec_b64 s[30:31], vcc
	s_cbranch_execz .LBB17_10
; %bb.9:                                ;   in Loop: Header=BB17_6 Depth=1
	v_ashrrev_i32_e32 v7, 31, v6
	v_lshlrev_b64 v[12:13], 3, v[6:7]
	v_add_co_u32_e32 v12, vcc, v25, v12
	v_addc_co_u32_e32 v13, vcc, v26, v13, vcc
	global_load_dwordx2 v[12:13], v[12:13], off
.LBB17_10:                              ;   in Loop: Header=BB17_6 Depth=1
	s_or_b64 exec, exec, s[30:31]
.LBB17_11:                              ;   in Loop: Header=BB17_6 Depth=1
	s_or_b64 exec, exec, s[22:23]
	s_waitcnt vmcnt(0)
	ds_bpermute_b32 v12, v30, v12
	ds_bpermute_b32 v13, v30, v13
.LBB17_12:                              ;   in Loop: Header=BB17_6 Depth=1
	s_and_b64 vcc, exec, s[20:21]
	s_cbranch_vccz .LBB17_24
.LBB17_13:                              ;   in Loop: Header=BB17_6 Depth=1
	v_mov_b32_e32 v15, 0
	v_mov_b32_e32 v14, 0
	s_and_saveexec_b64 s[22:23], s[8:9]
	s_cbranch_execz .LBB17_17
; %bb.14:                               ;   in Loop: Header=BB17_6 Depth=1
	v_add_u32_e32 v5, s34, v29
	v_cmp_gt_i32_e32 vcc, s33, v5
	v_mov_b32_e32 v15, 0
	v_mov_b32_e32 v14, 0
	s_and_saveexec_b64 s[30:31], vcc
	s_cbranch_execz .LBB17_16
; %bb.15:                               ;   in Loop: Header=BB17_6 Depth=1
	v_ashrrev_i32_e32 v11, 31, v10
	v_lshlrev_b64 v[14:15], 3, v[10:11]
	v_add_co_u32_e32 v14, vcc, v27, v14
	v_addc_co_u32_e32 v15, vcc, v28, v15, vcc
	global_load_dwordx2 v[14:15], v[14:15], off
.LBB17_16:                              ;   in Loop: Header=BB17_6 Depth=1
	s_or_b64 exec, exec, s[30:31]
.LBB17_17:                              ;   in Loop: Header=BB17_6 Depth=1
	s_or_b64 exec, exec, s[22:23]
	s_cbranch_execnz .LBB17_5
	s_branch .LBB17_25
.LBB17_18:                              ;   in Loop: Header=BB17_6 Depth=1
                                        ; implicit-def: $vgpr13
	s_cbranch_execz .LBB17_12
; %bb.19:                               ;   in Loop: Header=BB17_6 Depth=1
	s_waitcnt lgkmcnt(0)
	v_mov_b32_e32 v13, 0
	v_mov_b32_e32 v12, 0
	s_and_saveexec_b64 s[22:23], s[4:5]
	s_cbranch_execz .LBB17_23
; %bb.20:                               ;   in Loop: Header=BB17_6 Depth=1
	v_add_u32_e32 v5, s34, v29
	v_cmp_gt_i32_e32 vcc, s33, v5
	v_mov_b32_e32 v13, 0
	v_mov_b32_e32 v12, 0
	s_and_saveexec_b64 s[30:31], vcc
	s_cbranch_execz .LBB17_22
; %bb.21:                               ;   in Loop: Header=BB17_6 Depth=1
	v_ashrrev_i32_e32 v5, 31, v4
	v_lshlrev_b64 v[12:13], 3, v[4:5]
	v_add_co_u32_e32 v12, vcc, v25, v12
	v_addc_co_u32_e32 v13, vcc, v26, v13, vcc
	global_load_dwordx2 v[12:13], v[12:13], off
.LBB17_22:                              ;   in Loop: Header=BB17_6 Depth=1
	s_or_b64 exec, exec, s[30:31]
.LBB17_23:                              ;   in Loop: Header=BB17_6 Depth=1
	s_or_b64 exec, exec, s[22:23]
	s_and_b64 vcc, exec, s[20:21]
	s_cbranch_vccnz .LBB17_13
.LBB17_24:                              ;   in Loop: Header=BB17_6 Depth=1
                                        ; implicit-def: $vgpr15
.LBB17_25:                              ;   in Loop: Header=BB17_6 Depth=1
	s_waitcnt vmcnt(0)
	v_mov_b32_e32 v14, 0
	v_mov_b32_e32 v15, 0
	s_and_saveexec_b64 s[22:23], s[0:1]
	s_cbranch_execz .LBB17_4
; %bb.26:                               ;   in Loop: Header=BB17_6 Depth=1
	v_add_u32_e32 v5, s34, v22
	v_cmp_gt_i32_e32 vcc, s33, v5
	v_mov_b32_e32 v15, 0
	v_mov_b32_e32 v14, 0
	s_and_saveexec_b64 s[30:31], vcc
	s_cbranch_execz .LBB17_3
; %bb.27:                               ;   in Loop: Header=BB17_6 Depth=1
	v_ashrrev_i32_e32 v9, 31, v8
	v_lshlrev_b64 v[14:15], 3, v[8:9]
	v_add_co_u32_e32 v14, vcc, v27, v14
	v_addc_co_u32_e32 v15, vcc, v28, v15, vcc
	global_load_dwordx2 v[14:15], v[14:15], off
	s_branch .LBB17_3
.LBB17_28:
	ds_read_b32 v4, v24
.LBB17_29:
	s_load_dwordx4 s[4:7], s[6:7], 0x78
	v_mbcnt_hi_u32_b32 v9, -1, v23
	v_and_b32_e32 v9, 64, v9
	s_waitcnt lgkmcnt(0)
	s_mul_i32 s1, s10, s7
	s_mul_hi_u32 s2, s10, s6
	s_mul_i32 s3, s11, s6
	s_add_i32 s1, s2, s1
	s_mul_i32 s0, s10, s6
	s_add_i32 s1, s1, s3
	s_lshl_b64 s[0:1], s[0:1], 3
	s_add_u32 s2, s14, s0
	s_addc_u32 s3, s15, s1
	s_lshl_b64 s[0:1], s[26:27], 3
	s_add_u32 s2, s2, s0
	v_mul_lo_u32 v6, v18, s4
	s_addc_u32 s3, s3, s1
	v_mad_u64_u32 v[6:7], s[0:1], v19, s5, v[6:7]
	v_ashrrev_i32_e32 v7, 31, v6
	v_lshlrev_b64 v[6:7], 3, v[6:7]
	v_mov_b32_e32 v8, s3
	v_add_co_u32_e32 v5, vcc, s2, v6
	v_addc_co_u32_e32 v6, vcc, v8, v7, vcc
	v_lshlrev_b32_e32 v8, 4, v17
	v_and_b32_e32 v8, 48, v8
	v_or3_b32 v8, v8, v9, v21
	v_lshlrev_b32_e32 v8, 2, v8
	ds_bpermute_b32 v9, v8, v4
	ds_bpermute_b32 v10, v8, v14
	v_lshlrev_b32_e32 v7, 2, v22
	v_cmp_lt_i32_e32 vcc, v21, v20
	v_cmp_lt_i32_e64 s[0:1], v7, v16
	v_mul_lo_u32 v4, v21, s5
	s_and_b64 s[0:1], vcc, s[0:1]
	s_and_saveexec_b64 s[2:3], s[0:1]
	s_cbranch_execz .LBB17_31
; %bb.30:
	v_mad_u64_u32 v[18:19], s[0:1], v7, s4, v[4:5]
	v_ashrrev_i32_e32 v19, 31, v18
	v_lshlrev_b64 v[18:19], 3, v[18:19]
	v_add_co_u32_e64 v18, s[0:1], v5, v18
	v_addc_co_u32_e64 v19, s[0:1], v6, v19, s[0:1]
	global_load_dwordx2 v[20:21], v[18:19], off
	s_waitcnt lgkmcnt(0)
	v_mul_f32_e32 v11, s25, v10
	v_mul_f32_e32 v12, s25, v9
	v_fma_f32 v9, s24, v9, -v11
	v_fmac_f32_e32 v12, s24, v10
	s_waitcnt vmcnt(0)
	v_mul_f32_e32 v10, s19, v21
	v_mul_f32_e32 v11, s18, v21
	v_fma_f32 v10, s18, v20, -v10
	v_fmac_f32_e32 v11, s19, v20
	v_add_f32_e32 v10, v9, v10
	v_add_f32_e32 v11, v12, v11
	global_store_dwordx2 v[18:19], v[10:11], off
.LBB17_31:
	s_or_b64 exec, exec, s[2:3]
	s_waitcnt lgkmcnt(1)
	ds_bpermute_b32 v9, v8, v13
	s_waitcnt lgkmcnt(1)
	ds_bpermute_b32 v10, v8, v15
	v_or_b32_e32 v11, 1, v7
	v_cmp_lt_i32_e64 s[0:1], v11, v16
	s_and_b64 s[0:1], vcc, s[0:1]
	s_and_saveexec_b64 s[2:3], s[0:1]
	s_cbranch_execz .LBB17_33
; %bb.32:
	v_mad_u64_u32 v[12:13], s[0:1], v11, s4, v[4:5]
	v_ashrrev_i32_e32 v13, 31, v12
	v_lshlrev_b64 v[12:13], 3, v[12:13]
	v_add_co_u32_e64 v12, s[0:1], v5, v12
	v_addc_co_u32_e64 v13, s[0:1], v6, v13, s[0:1]
	global_load_dwordx2 v[14:15], v[12:13], off
	s_waitcnt lgkmcnt(0)
	v_mul_f32_e32 v11, s25, v10
	v_mul_f32_e32 v17, s24, v10
	v_fma_f32 v10, s24, v9, -v11
	v_fmac_f32_e32 v17, s25, v9
	s_waitcnt vmcnt(0)
	v_mul_f32_e32 v9, s19, v15
	v_mul_f32_e32 v11, s18, v15
	v_fma_f32 v9, s18, v14, -v9
	v_fmac_f32_e32 v11, s19, v14
	v_add_f32_e32 v10, v10, v9
	v_add_f32_e32 v11, v17, v11
	global_store_dwordx2 v[12:13], v[10:11], off
.LBB17_33:
	s_or_b64 exec, exec, s[2:3]
	ds_bpermute_b32 v0, v8, v0
	ds_bpermute_b32 v2, v8, v2
	s_waitcnt lgkmcnt(3)
	v_or_b32_e32 v9, 2, v7
	v_cmp_lt_i32_e64 s[0:1], v9, v16
	s_and_b64 s[0:1], vcc, s[0:1]
	s_and_saveexec_b64 s[2:3], s[0:1]
	s_cbranch_execz .LBB17_35
; %bb.34:
	s_waitcnt lgkmcnt(2)
	v_mad_u64_u32 v[10:11], s[0:1], v9, s4, v[4:5]
	v_ashrrev_i32_e32 v11, 31, v10
	v_lshlrev_b64 v[10:11], 3, v[10:11]
	v_add_co_u32_e64 v10, s[0:1], v5, v10
	v_addc_co_u32_e64 v11, s[0:1], v6, v11, s[0:1]
	global_load_dwordx2 v[12:13], v[10:11], off
	s_waitcnt lgkmcnt(0)
	v_mul_f32_e32 v9, s25, v2
	v_mul_f32_e32 v2, s24, v2
	v_fma_f32 v9, s24, v0, -v9
	v_fmac_f32_e32 v2, s25, v0
	s_waitcnt vmcnt(0)
	v_mul_f32_e32 v0, s19, v13
	v_mul_f32_e32 v13, s18, v13
	v_fma_f32 v0, s18, v12, -v0
	v_fmac_f32_e32 v13, s19, v12
	v_add_f32_e32 v12, v9, v0
	v_add_f32_e32 v13, v2, v13
	global_store_dwordx2 v[10:11], v[12:13], off
.LBB17_35:
	s_or_b64 exec, exec, s[2:3]
	s_waitcnt lgkmcnt(1)
	ds_bpermute_b32 v0, v8, v1
	ds_bpermute_b32 v1, v8, v3
	s_waitcnt lgkmcnt(2)
	v_or_b32_e32 v2, 3, v7
	v_cmp_lt_i32_e64 s[0:1], v2, v16
	s_and_b64 s[0:1], vcc, s[0:1]
	s_and_b64 exec, exec, s[0:1]
	s_cbranch_execz .LBB17_37
; %bb.36:
	v_mad_u64_u32 v[2:3], s[0:1], v2, s4, v[4:5]
	v_ashrrev_i32_e32 v3, 31, v2
	v_lshlrev_b64 v[2:3], 3, v[2:3]
	v_add_co_u32_e32 v2, vcc, v5, v2
	v_addc_co_u32_e32 v3, vcc, v6, v3, vcc
	global_load_dwordx2 v[4:5], v[2:3], off
	s_waitcnt lgkmcnt(0)
	v_mul_f32_e32 v6, s25, v1
	v_mul_f32_e32 v1, s24, v1
	v_fma_f32 v6, s24, v0, -v6
	v_fmac_f32_e32 v1, s25, v0
	s_waitcnt vmcnt(0)
	v_mul_f32_e32 v0, s19, v5
	v_mul_f32_e32 v5, s18, v5
	v_fma_f32 v0, s18, v4, -v0
	v_fmac_f32_e32 v5, s19, v4
	v_add_f32_e32 v0, v6, v0
	v_add_f32_e32 v1, v1, v5
	global_store_dwordx2 v[2:3], v[0:1], off
.LBB17_37:
	s_endpgm
	.section	.rodata,"a",@progbits
	.p2align	6, 0x0
	.amdhsa_kernel _ZN9rocsolver6v33100L16mfma_gemm_kernelI19rocblas_complex_numIfEiPKS3_PKPS3_S8_S6_EEv18rocblas_operation_S9_T0_SA_SA_T1_T2_lSA_SA_lT3_lSA_SA_lSB_T4_lSA_SA_l
		.amdhsa_group_segment_fixed_size 20480
		.amdhsa_private_segment_fixed_size 0
		.amdhsa_kernarg_size 392
		.amdhsa_user_sgpr_count 8
		.amdhsa_user_sgpr_private_segment_buffer 1
		.amdhsa_user_sgpr_dispatch_ptr 1
		.amdhsa_user_sgpr_queue_ptr 0
		.amdhsa_user_sgpr_kernarg_segment_ptr 1
		.amdhsa_user_sgpr_dispatch_id 0
		.amdhsa_user_sgpr_flat_scratch_init 0
		.amdhsa_user_sgpr_kernarg_preload_length 0
		.amdhsa_user_sgpr_kernarg_preload_offset 0
		.amdhsa_user_sgpr_private_segment_size 0
		.amdhsa_uses_dynamic_stack 0
		.amdhsa_system_sgpr_private_segment_wavefront_offset 0
		.amdhsa_system_sgpr_workgroup_id_x 1
		.amdhsa_system_sgpr_workgroup_id_y 1
		.amdhsa_system_sgpr_workgroup_id_z 1
		.amdhsa_system_sgpr_workgroup_info 0
		.amdhsa_system_vgpr_workitem_id 2
		.amdhsa_next_free_vgpr 50
		.amdhsa_next_free_sgpr 40
		.amdhsa_accum_offset 52
		.amdhsa_reserve_vcc 1
		.amdhsa_reserve_flat_scratch 0
		.amdhsa_float_round_mode_32 0
		.amdhsa_float_round_mode_16_64 0
		.amdhsa_float_denorm_mode_32 3
		.amdhsa_float_denorm_mode_16_64 3
		.amdhsa_dx10_clamp 1
		.amdhsa_ieee_mode 1
		.amdhsa_fp16_overflow 0
		.amdhsa_tg_split 0
		.amdhsa_exception_fp_ieee_invalid_op 0
		.amdhsa_exception_fp_denorm_src 0
		.amdhsa_exception_fp_ieee_div_zero 0
		.amdhsa_exception_fp_ieee_overflow 0
		.amdhsa_exception_fp_ieee_underflow 0
		.amdhsa_exception_fp_ieee_inexact 0
		.amdhsa_exception_int_div_zero 0
	.end_amdhsa_kernel
	.section	.text._ZN9rocsolver6v33100L16mfma_gemm_kernelI19rocblas_complex_numIfEiPKS3_PKPS3_S8_S6_EEv18rocblas_operation_S9_T0_SA_SA_T1_T2_lSA_SA_lT3_lSA_SA_lSB_T4_lSA_SA_l,"axG",@progbits,_ZN9rocsolver6v33100L16mfma_gemm_kernelI19rocblas_complex_numIfEiPKS3_PKPS3_S8_S6_EEv18rocblas_operation_S9_T0_SA_SA_T1_T2_lSA_SA_lT3_lSA_SA_lSB_T4_lSA_SA_l,comdat
.Lfunc_end17:
	.size	_ZN9rocsolver6v33100L16mfma_gemm_kernelI19rocblas_complex_numIfEiPKS3_PKPS3_S8_S6_EEv18rocblas_operation_S9_T0_SA_SA_T1_T2_lSA_SA_lT3_lSA_SA_lSB_T4_lSA_SA_l, .Lfunc_end17-_ZN9rocsolver6v33100L16mfma_gemm_kernelI19rocblas_complex_numIfEiPKS3_PKPS3_S8_S6_EEv18rocblas_operation_S9_T0_SA_SA_T1_T2_lSA_SA_lT3_lSA_SA_lSB_T4_lSA_SA_l
                                        ; -- End function
	.section	.AMDGPU.csdata,"",@progbits
; Kernel info:
; codeLenInByte = 2148
; NumSgprs: 44
; NumVgprs: 50
; NumAgprs: 0
; TotalNumVgprs: 50
; ScratchSize: 0
; MemoryBound: 0
; FloatMode: 240
; IeeeMode: 1
; LDSByteSize: 20480 bytes/workgroup (compile time only)
; SGPRBlocks: 5
; VGPRBlocks: 6
; NumSGPRsForWavesPerEU: 44
; NumVGPRsForWavesPerEU: 50
; AccumOffset: 52
; Occupancy: 8
; WaveLimiterHint : 1
; COMPUTE_PGM_RSRC2:SCRATCH_EN: 0
; COMPUTE_PGM_RSRC2:USER_SGPR: 8
; COMPUTE_PGM_RSRC2:TRAP_HANDLER: 0
; COMPUTE_PGM_RSRC2:TGID_X_EN: 1
; COMPUTE_PGM_RSRC2:TGID_Y_EN: 1
; COMPUTE_PGM_RSRC2:TGID_Z_EN: 1
; COMPUTE_PGM_RSRC2:TIDIG_COMP_CNT: 2
; COMPUTE_PGM_RSRC3_GFX90A:ACCUM_OFFSET: 12
; COMPUTE_PGM_RSRC3_GFX90A:TG_SPLIT: 0
	.section	.text._ZN9rocsolver6v33100L16mfma_gemm_kernelI19rocblas_complex_numIfEiS3_PKPS3_S6_S4_EEv18rocblas_operation_S7_T0_S8_S8_T1_T2_lS8_S8_lT3_lS8_S8_lS9_T4_lS8_S8_l,"axG",@progbits,_ZN9rocsolver6v33100L16mfma_gemm_kernelI19rocblas_complex_numIfEiS3_PKPS3_S6_S4_EEv18rocblas_operation_S7_T0_S8_S8_T1_T2_lS8_S8_lT3_lS8_S8_lS9_T4_lS8_S8_l,comdat
	.globl	_ZN9rocsolver6v33100L16mfma_gemm_kernelI19rocblas_complex_numIfEiS3_PKPS3_S6_S4_EEv18rocblas_operation_S7_T0_S8_S8_T1_T2_lS8_S8_lT3_lS8_S8_lS9_T4_lS8_S8_l ; -- Begin function _ZN9rocsolver6v33100L16mfma_gemm_kernelI19rocblas_complex_numIfEiS3_PKPS3_S6_S4_EEv18rocblas_operation_S7_T0_S8_S8_T1_T2_lS8_S8_lT3_lS8_S8_lS9_T4_lS8_S8_l
	.p2align	8
	.type	_ZN9rocsolver6v33100L16mfma_gemm_kernelI19rocblas_complex_numIfEiS3_PKPS3_S6_S4_EEv18rocblas_operation_S7_T0_S8_S8_T1_T2_lS8_S8_lT3_lS8_S8_lS9_T4_lS8_S8_l,@function
_ZN9rocsolver6v33100L16mfma_gemm_kernelI19rocblas_complex_numIfEiS3_PKPS3_S6_S4_EEv18rocblas_operation_S7_T0_S8_S8_T1_T2_lS8_S8_lT3_lS8_S8_lS9_T4_lS8_S8_l: ; @_ZN9rocsolver6v33100L16mfma_gemm_kernelI19rocblas_complex_numIfEiS3_PKPS3_S6_S4_EEv18rocblas_operation_S7_T0_S8_S8_T1_T2_lS8_S8_lT3_lS8_S8_lS9_T4_lS8_S8_l
; %bb.0:
	s_load_dword s0, s[6:7], 0x94
	s_load_dwordx4 s[16:19], s[6:7], 0x0
	v_and_b32_e32 v17, 0x3ff, v0
	v_bfe_u32 v1, v0, 10, 10
	v_lshrrev_b32_e32 v2, 6, v17
	s_waitcnt lgkmcnt(0)
	s_lshr_b32 s1, s0, 16
	s_bfe_u32 s0, s0, 0xa0006
	s_mul_i32 s8, s8, s0
	s_mul_i32 s9, s9, s1
	v_add_lshl_u32 v18, s8, v2, 4
	v_add_u32_e32 v2, s9, v1
	v_lshlrev_b32_e32 v19, 4, v2
	v_cmp_gt_i32_e32 vcc, s18, v18
	v_cmp_gt_i32_e64 s[0:1], s19, v19
	s_and_b64 s[0:1], vcc, s[0:1]
	s_and_saveexec_b64 s[2:3], s[0:1]
	s_cbranch_execz .LBB18_37
; %bb.1:
	s_load_dwordx2 s[0:1], s[4:5], 0x4
	v_bfe_u32 v0, v0, 20, 10
	s_load_dwordx4 s[12:15], s[6:7], 0x10
	s_load_dwordx2 s[20:21], s[6:7], 0x60
	s_ashr_i32 s11, s10, 31
	v_bfe_u32 v21, v17, 2, 4
	s_waitcnt lgkmcnt(0)
	s_lshr_b32 s0, s0, 16
	s_mul_i32 s0, s0, s1
	v_mul_lo_u32 v2, s0, v17
	s_ashr_i32 s0, s18, 31
	s_lshr_b32 s0, s0, 28
	s_add_i32 s0, s18, s0
	s_and_b32 s0, s0, -16
	v_mul_u32_u24_e32 v1, s1, v1
	s_sub_i32 s0, s18, s0
	v_add3_u32 v0, v2, v1, v0
	v_mov_b32_e32 v1, s0
	s_ashr_i32 s0, s19, 31
	s_lshr_b32 s0, s0, 28
	s_add_i32 s0, s19, s0
	v_mul_lo_u32 v24, v0, 20
	v_add_u32_e32 v0, 16, v18
	s_and_b32 s0, s0, -16
	v_cmp_lt_i32_e32 vcc, s18, v0
	v_add_u32_e32 v0, 16, v19
	s_sub_i32 s0, s19, s0
	v_cndmask_b32_e32 v16, 16, v1, vcc
	v_mov_b32_e32 v1, s0
	v_cmp_lt_i32_e32 vcc, s19, v0
	v_cndmask_b32_e32 v20, 16, v1, vcc
	v_and_b32_e32 v22, 3, v17
	s_cmp_lt_i32 s12, 1
	v_mov_b32_e32 v1, 0
	s_mov_b32 s15, 0
	v_cmp_lt_i32_e64 s[0:1], v21, v20
	v_mbcnt_lo_u32_b32 v23, -1, 0
	v_mov_b32_e32 v2, 0
	v_mov_b32_e32 v13, 0
	;; [unrolled: 1-line block ×7, first 2 shown]
	ds_write2_b32 v24, v1, v1 offset0:2 offset1:3
	ds_write2_b32 v24, v1, v1 offset1:1
	ds_write_b32 v24, v1 offset:16
	s_cbranch_scc1 .LBB18_29
; %bb.2:
	s_load_dwordx4 s[24:27], s[6:7], 0x20
	s_load_dwordx2 s[34:35], s[6:7], 0x30
	s_lshl_b64 s[2:3], s[10:11], 3
	v_and_b32_e32 v2, 63, v17
	v_lshrrev_b32_e32 v29, 4, v2
	s_waitcnt lgkmcnt(0)
	s_add_u32 s4, s24, s2
	s_addc_u32 s5, s25, s3
	s_load_dwordx2 s[8:9], s[4:5], 0x0
	s_load_dwordx4 s[28:31], s[6:7], 0x40
	s_load_dwordx2 s[36:37], s[6:7], 0x50
	s_lshl_b64 s[4:5], s[26:27], 3
	s_waitcnt lgkmcnt(0)
	s_add_u32 s8, s8, s4
	s_addc_u32 s4, s9, s5
	s_add_u32 s2, s28, s2
	s_addc_u32 s3, s29, s3
	s_load_dwordx2 s[2:3], s[2:3], 0x0
	v_mov_b32_e32 v3, s4
	s_lshl_b64 s[4:5], s[30:31], 3
	s_waitcnt lgkmcnt(0)
	s_add_u32 s2, s2, s4
	s_addc_u32 s3, s3, s5
	s_cmpk_lg_i32 s16, 0x6f
	s_cselect_b64 s[18:19], -1, 0
	s_cmpk_eq_i32 s16, 0x6f
	s_cselect_b32 s4, s34, s35
	v_mul_lo_u32 v0, v18, s4
	s_cmpk_lg_i32 s17, 0x6f
	v_ashrrev_i32_e32 v1, 31, v0
	s_cselect_b64 s[22:23], -1, 0
	s_cmpk_eq_i32 s17, 0x6f
	v_lshlrev_b64 v[0:1], 3, v[0:1]
	s_cselect_b32 s4, s37, s36
	v_add_co_u32_e32 v25, vcc, s8, v0
	v_mul_lo_u32 v0, v19, s4
	v_addc_co_u32_e32 v26, vcc, v3, v1, vcc
	v_ashrrev_i32_e32 v1, 31, v0
	v_lshlrev_b64 v[0:1], 3, v[0:1]
	v_mov_b32_e32 v3, s3
	v_add_co_u32_e32 v27, vcc, s2, v0
	v_addc_co_u32_e32 v28, vcc, v3, v1, vcc
	v_and_b32_e32 v1, 15, v17
	v_mul_lo_u32 v0, v1, s34
	v_mad_u64_u32 v[4:5], s[26:27], s35, v29, v[0:1]
	v_mul_lo_u32 v0, s34, v22
	v_mad_u64_u32 v[6:7], s[26:27], v21, s35, v[0:1]
	v_mul_lo_u32 v0, s36, v22
	v_lshl_or_b32 v3, v1, 2, v29
	v_cmp_lt_i32_e64 s[4:5], v1, v16
	v_cmp_lt_i32_e64 s[8:9], v1, v20
	v_mul_lo_u32 v2, v1, s36
	s_cmpk_eq_i32 s16, 0x71
	v_mad_u64_u32 v[8:9], s[26:27], v21, s37, v[0:1]
	v_mbcnt_hi_u32_b32 v1, -1, v23
	s_cselect_b64 s[24:25], -1, 0
	s_cmpk_eq_i32 s17, 0x71
	v_mov_b32_e32 v0, 0
	v_and_or_b32 v1, v1, 64, v3
	v_cmp_lt_i32_e64 s[2:3], v21, v16
	s_cselect_b64 s[16:17], -1, 0
	s_lshl_b32 s30, s35, 2
	s_lshl_b32 s31, s34, 2
	;; [unrolled: 1-line block ×3, first 2 shown]
	v_mad_u64_u32 v[10:11], s[26:27], s37, v29, v[2:3]
	s_lshl_b32 s34, s37, 2
	v_lshlrev_b32_e32 v30, 2, v1
	v_mov_b32_e32 v3, v0
	v_mov_b32_e32 v2, v0
	;; [unrolled: 1-line block ×3, first 2 shown]
	s_branch .LBB18_6
.LBB18_3:                               ;   in Loop: Header=BB18_6 Depth=1
	s_or_b64 exec, exec, s[28:29]
.LBB18_4:                               ;   in Loop: Header=BB18_6 Depth=1
	s_or_b64 exec, exec, s[26:27]
	s_waitcnt vmcnt(0)
	ds_bpermute_b32 v14, v30, v14
	ds_bpermute_b32 v15, v30, v15
.LBB18_5:                               ;   in Loop: Header=BB18_6 Depth=1
	s_waitcnt vmcnt(0) lgkmcnt(0)
	v_cndmask_b32_e64 v7, v13, -v13, s[24:25]
	v_cndmask_b32_e64 v5, v15, -v15, s[16:17]
	v_mfma_f32_16x16x4f32 v[32:35], v12, v14, 0
	s_add_i32 s15, s15, 4
	v_add_u32_e32 v4, s30, v4
	v_add_u32_e32 v6, s31, v6
	;; [unrolled: 1-line block ×3, first 2 shown]
	s_cmp_ge_i32 s15, s12
	v_add_u32_e32 v10, s34, v10
	v_mfma_f32_16x16x4f32 v[40:43], v7, v5, 0
	v_mfma_f32_16x16x4f32 v[36:39], v12, v5, 0
	ds_read2_b32 v[12:13], v24 offset1:1
	ds_read2_b32 v[44:45], v24 offset0:3 offset1:4
	ds_read2_b32 v[46:47], v24 offset0:2 offset1:3
	;; [unrolled: 1-line block ×3, first 2 shown]
	s_nop 5
	v_sub_f32_e32 v35, v35, v43
	v_sub_f32_e32 v34, v34, v42
	;; [unrolled: 1-line block ×4, first 2 shown]
	s_waitcnt lgkmcnt(1)
	v_mov_b32_e32 v13, v46
	v_pk_add_f32 v[12:13], v[12:13], v[32:33]
	v_pk_add_f32 v[0:1], v[0:1], v[34:35]
	v_mfma_f32_16x16x4f32 v[32:35], v7, v14, 0
	s_waitcnt lgkmcnt(0)
	v_mov_b32_e32 v49, v44
	s_nop 7
	s_nop 0
	v_pk_add_f32 v[14:15], v[38:39], v[34:35]
	v_pk_add_f32 v[32:33], v[36:37], v[32:33]
	;; [unrolled: 1-line block ×4, first 2 shown]
	ds_write2_b32 v24, v12, v14 offset1:1
	v_mov_b32_e32 v12, v13
	v_mov_b32_e32 v5, v15
	ds_write2_b32 v24, v13, v15 offset0:2 offset1:3
	ds_write_b32 v24, v0 offset:16
	s_cbranch_scc1 .LBB18_28
.LBB18_6:                               ; =>This Inner Loop Header: Depth=1
	s_and_b64 vcc, exec, s[18:19]
	s_cbranch_vccz .LBB18_18
; %bb.7:                                ;   in Loop: Header=BB18_6 Depth=1
	v_mov_b32_e32 v12, 0
	v_mov_b32_e32 v13, 0
	s_and_saveexec_b64 s[26:27], s[2:3]
	s_cbranch_execz .LBB18_11
; %bb.8:                                ;   in Loop: Header=BB18_6 Depth=1
	v_add_u32_e32 v5, s15, v22
	v_cmp_gt_i32_e32 vcc, s12, v5
	v_mov_b32_e32 v13, 0
	v_mov_b32_e32 v12, 0
	s_and_saveexec_b64 s[28:29], vcc
	s_cbranch_execz .LBB18_10
; %bb.9:                                ;   in Loop: Header=BB18_6 Depth=1
	v_ashrrev_i32_e32 v7, 31, v6
	v_lshlrev_b64 v[12:13], 3, v[6:7]
	v_add_co_u32_e32 v12, vcc, v25, v12
	v_addc_co_u32_e32 v13, vcc, v26, v13, vcc
	global_load_dwordx2 v[12:13], v[12:13], off
.LBB18_10:                              ;   in Loop: Header=BB18_6 Depth=1
	s_or_b64 exec, exec, s[28:29]
.LBB18_11:                              ;   in Loop: Header=BB18_6 Depth=1
	s_or_b64 exec, exec, s[26:27]
	s_waitcnt vmcnt(0)
	ds_bpermute_b32 v12, v30, v12
	ds_bpermute_b32 v13, v30, v13
.LBB18_12:                              ;   in Loop: Header=BB18_6 Depth=1
	s_and_b64 vcc, exec, s[22:23]
	s_cbranch_vccz .LBB18_24
.LBB18_13:                              ;   in Loop: Header=BB18_6 Depth=1
	v_mov_b32_e32 v15, 0
	v_mov_b32_e32 v14, 0
	s_and_saveexec_b64 s[26:27], s[8:9]
	s_cbranch_execz .LBB18_17
; %bb.14:                               ;   in Loop: Header=BB18_6 Depth=1
	v_add_u32_e32 v5, s15, v29
	v_cmp_gt_i32_e32 vcc, s12, v5
	v_mov_b32_e32 v15, 0
	v_mov_b32_e32 v14, 0
	s_and_saveexec_b64 s[28:29], vcc
	s_cbranch_execz .LBB18_16
; %bb.15:                               ;   in Loop: Header=BB18_6 Depth=1
	v_ashrrev_i32_e32 v11, 31, v10
	v_lshlrev_b64 v[14:15], 3, v[10:11]
	v_add_co_u32_e32 v14, vcc, v27, v14
	v_addc_co_u32_e32 v15, vcc, v28, v15, vcc
	global_load_dwordx2 v[14:15], v[14:15], off
.LBB18_16:                              ;   in Loop: Header=BB18_6 Depth=1
	s_or_b64 exec, exec, s[28:29]
.LBB18_17:                              ;   in Loop: Header=BB18_6 Depth=1
	s_or_b64 exec, exec, s[26:27]
	s_cbranch_execnz .LBB18_5
	s_branch .LBB18_25
.LBB18_18:                              ;   in Loop: Header=BB18_6 Depth=1
                                        ; implicit-def: $vgpr13
	s_cbranch_execz .LBB18_12
; %bb.19:                               ;   in Loop: Header=BB18_6 Depth=1
	s_waitcnt lgkmcnt(0)
	v_mov_b32_e32 v13, 0
	v_mov_b32_e32 v12, 0
	s_and_saveexec_b64 s[26:27], s[4:5]
	s_cbranch_execz .LBB18_23
; %bb.20:                               ;   in Loop: Header=BB18_6 Depth=1
	v_add_u32_e32 v5, s15, v29
	v_cmp_gt_i32_e32 vcc, s12, v5
	v_mov_b32_e32 v13, 0
	v_mov_b32_e32 v12, 0
	s_and_saveexec_b64 s[28:29], vcc
	s_cbranch_execz .LBB18_22
; %bb.21:                               ;   in Loop: Header=BB18_6 Depth=1
	v_ashrrev_i32_e32 v5, 31, v4
	v_lshlrev_b64 v[12:13], 3, v[4:5]
	v_add_co_u32_e32 v12, vcc, v25, v12
	v_addc_co_u32_e32 v13, vcc, v26, v13, vcc
	global_load_dwordx2 v[12:13], v[12:13], off
.LBB18_22:                              ;   in Loop: Header=BB18_6 Depth=1
	s_or_b64 exec, exec, s[28:29]
.LBB18_23:                              ;   in Loop: Header=BB18_6 Depth=1
	s_or_b64 exec, exec, s[26:27]
	s_and_b64 vcc, exec, s[22:23]
	s_cbranch_vccnz .LBB18_13
.LBB18_24:                              ;   in Loop: Header=BB18_6 Depth=1
                                        ; implicit-def: $vgpr15
.LBB18_25:                              ;   in Loop: Header=BB18_6 Depth=1
	s_waitcnt vmcnt(0)
	v_mov_b32_e32 v14, 0
	v_mov_b32_e32 v15, 0
	s_and_saveexec_b64 s[26:27], s[0:1]
	s_cbranch_execz .LBB18_4
; %bb.26:                               ;   in Loop: Header=BB18_6 Depth=1
	v_add_u32_e32 v5, s15, v22
	v_cmp_gt_i32_e32 vcc, s12, v5
	v_mov_b32_e32 v15, 0
	v_mov_b32_e32 v14, 0
	s_and_saveexec_b64 s[28:29], vcc
	s_cbranch_execz .LBB18_3
; %bb.27:                               ;   in Loop: Header=BB18_6 Depth=1
	v_ashrrev_i32_e32 v9, 31, v8
	v_lshlrev_b64 v[14:15], 3, v[8:9]
	v_add_co_u32_e32 v14, vcc, v27, v14
	v_addc_co_u32_e32 v15, vcc, v28, v15, vcc
	global_load_dwordx2 v[14:15], v[14:15], off
	s_branch .LBB18_3
.LBB18_28:
	ds_read_b32 v4, v24
.LBB18_29:
	s_load_dwordx8 s[0:7], s[6:7], 0x68
	v_mbcnt_hi_u32_b32 v9, -1, v23
	v_and_b32_e32 v9, 64, v9
	s_waitcnt lgkmcnt(0)
	s_mul_i32 s7, s10, s7
	s_mul_hi_u32 s8, s10, s6
	s_mul_i32 s9, s11, s6
	s_add_i32 s7, s8, s7
	s_mul_i32 s6, s10, s6
	s_add_i32 s7, s7, s9
	s_lshl_b64 s[6:7], s[6:7], 3
	s_add_u32 s6, s0, s6
	s_addc_u32 s7, s1, s7
	s_lshl_b64 s[0:1], s[2:3], 3
	s_add_u32 s2, s6, s0
	v_mul_lo_u32 v6, v18, s4
	s_addc_u32 s3, s7, s1
	v_mad_u64_u32 v[6:7], s[0:1], v19, s5, v[6:7]
	v_ashrrev_i32_e32 v7, 31, v6
	v_lshlrev_b64 v[6:7], 3, v[6:7]
	v_mov_b32_e32 v8, s3
	v_add_co_u32_e32 v5, vcc, s2, v6
	v_addc_co_u32_e32 v6, vcc, v8, v7, vcc
	v_lshlrev_b32_e32 v8, 4, v17
	v_and_b32_e32 v8, 48, v8
	v_or3_b32 v8, v8, v9, v21
	v_lshlrev_b32_e32 v8, 2, v8
	ds_bpermute_b32 v9, v8, v4
	ds_bpermute_b32 v10, v8, v14
	v_lshlrev_b32_e32 v7, 2, v22
	v_cmp_lt_i32_e32 vcc, v21, v20
	v_cmp_lt_i32_e64 s[0:1], v7, v16
	v_mul_lo_u32 v4, v21, s5
	s_and_b64 s[0:1], vcc, s[0:1]
	s_and_saveexec_b64 s[2:3], s[0:1]
	s_cbranch_execz .LBB18_31
; %bb.30:
	v_mad_u64_u32 v[18:19], s[0:1], v7, s4, v[4:5]
	v_ashrrev_i32_e32 v19, 31, v18
	v_lshlrev_b64 v[18:19], 3, v[18:19]
	v_add_co_u32_e64 v18, s[0:1], v5, v18
	v_addc_co_u32_e64 v19, s[0:1], v6, v19, s[0:1]
	global_load_dwordx2 v[20:21], v[18:19], off
	s_waitcnt lgkmcnt(0)
	v_mul_f32_e32 v11, s14, v10
	v_mul_f32_e32 v12, s14, v9
	v_fma_f32 v9, s13, v9, -v11
	v_fmac_f32_e32 v12, s13, v10
	s_waitcnt vmcnt(0)
	v_mul_f32_e32 v10, s21, v21
	v_mul_f32_e32 v11, s20, v21
	v_fma_f32 v10, s20, v20, -v10
	v_fmac_f32_e32 v11, s21, v20
	v_add_f32_e32 v10, v9, v10
	v_add_f32_e32 v11, v12, v11
	global_store_dwordx2 v[18:19], v[10:11], off
.LBB18_31:
	s_or_b64 exec, exec, s[2:3]
	s_waitcnt lgkmcnt(1)
	ds_bpermute_b32 v9, v8, v13
	s_waitcnt lgkmcnt(1)
	ds_bpermute_b32 v10, v8, v15
	v_or_b32_e32 v11, 1, v7
	v_cmp_lt_i32_e64 s[0:1], v11, v16
	s_and_b64 s[0:1], vcc, s[0:1]
	s_and_saveexec_b64 s[2:3], s[0:1]
	s_cbranch_execz .LBB18_33
; %bb.32:
	v_mad_u64_u32 v[12:13], s[0:1], v11, s4, v[4:5]
	v_ashrrev_i32_e32 v13, 31, v12
	v_lshlrev_b64 v[12:13], 3, v[12:13]
	v_add_co_u32_e64 v12, s[0:1], v5, v12
	v_addc_co_u32_e64 v13, s[0:1], v6, v13, s[0:1]
	global_load_dwordx2 v[14:15], v[12:13], off
	s_waitcnt lgkmcnt(0)
	v_mul_f32_e32 v11, s14, v10
	v_mul_f32_e32 v17, s13, v10
	v_fma_f32 v10, s13, v9, -v11
	v_fmac_f32_e32 v17, s14, v9
	s_waitcnt vmcnt(0)
	v_mul_f32_e32 v9, s21, v15
	v_mul_f32_e32 v11, s20, v15
	v_fma_f32 v9, s20, v14, -v9
	v_fmac_f32_e32 v11, s21, v14
	v_add_f32_e32 v10, v10, v9
	v_add_f32_e32 v11, v17, v11
	global_store_dwordx2 v[12:13], v[10:11], off
.LBB18_33:
	s_or_b64 exec, exec, s[2:3]
	ds_bpermute_b32 v0, v8, v0
	ds_bpermute_b32 v2, v8, v2
	s_waitcnt lgkmcnt(3)
	v_or_b32_e32 v9, 2, v7
	v_cmp_lt_i32_e64 s[0:1], v9, v16
	s_and_b64 s[0:1], vcc, s[0:1]
	s_and_saveexec_b64 s[2:3], s[0:1]
	s_cbranch_execz .LBB18_35
; %bb.34:
	s_waitcnt lgkmcnt(2)
	v_mad_u64_u32 v[10:11], s[0:1], v9, s4, v[4:5]
	v_ashrrev_i32_e32 v11, 31, v10
	v_lshlrev_b64 v[10:11], 3, v[10:11]
	v_add_co_u32_e64 v10, s[0:1], v5, v10
	v_addc_co_u32_e64 v11, s[0:1], v6, v11, s[0:1]
	global_load_dwordx2 v[12:13], v[10:11], off
	s_waitcnt lgkmcnt(0)
	v_mul_f32_e32 v9, s14, v2
	v_mul_f32_e32 v2, s13, v2
	v_fma_f32 v9, s13, v0, -v9
	v_fmac_f32_e32 v2, s14, v0
	s_waitcnt vmcnt(0)
	v_mul_f32_e32 v0, s21, v13
	v_mul_f32_e32 v13, s20, v13
	v_fma_f32 v0, s20, v12, -v0
	v_fmac_f32_e32 v13, s21, v12
	v_add_f32_e32 v12, v9, v0
	v_add_f32_e32 v13, v2, v13
	global_store_dwordx2 v[10:11], v[12:13], off
.LBB18_35:
	s_or_b64 exec, exec, s[2:3]
	s_waitcnt lgkmcnt(1)
	ds_bpermute_b32 v0, v8, v1
	ds_bpermute_b32 v1, v8, v3
	s_waitcnt lgkmcnt(2)
	v_or_b32_e32 v2, 3, v7
	v_cmp_lt_i32_e64 s[0:1], v2, v16
	s_and_b64 s[0:1], vcc, s[0:1]
	s_and_b64 exec, exec, s[0:1]
	s_cbranch_execz .LBB18_37
; %bb.36:
	v_mad_u64_u32 v[2:3], s[0:1], v2, s4, v[4:5]
	v_ashrrev_i32_e32 v3, 31, v2
	v_lshlrev_b64 v[2:3], 3, v[2:3]
	v_add_co_u32_e32 v2, vcc, v5, v2
	v_addc_co_u32_e32 v3, vcc, v6, v3, vcc
	global_load_dwordx2 v[4:5], v[2:3], off
	s_waitcnt lgkmcnt(0)
	v_mul_f32_e32 v6, s14, v1
	v_mul_f32_e32 v1, s13, v1
	v_fma_f32 v6, s13, v0, -v6
	v_fmac_f32_e32 v1, s14, v0
	s_waitcnt vmcnt(0)
	v_mul_f32_e32 v0, s21, v5
	v_mul_f32_e32 v5, s20, v5
	v_fma_f32 v0, s20, v4, -v0
	v_fmac_f32_e32 v5, s21, v4
	v_add_f32_e32 v0, v6, v0
	v_add_f32_e32 v1, v1, v5
	global_store_dwordx2 v[2:3], v[0:1], off
.LBB18_37:
	s_endpgm
	.section	.rodata,"a",@progbits
	.p2align	6, 0x0
	.amdhsa_kernel _ZN9rocsolver6v33100L16mfma_gemm_kernelI19rocblas_complex_numIfEiS3_PKPS3_S6_S4_EEv18rocblas_operation_S7_T0_S8_S8_T1_T2_lS8_S8_lT3_lS8_S8_lS9_T4_lS8_S8_l
		.amdhsa_group_segment_fixed_size 20480
		.amdhsa_private_segment_fixed_size 0
		.amdhsa_kernarg_size 392
		.amdhsa_user_sgpr_count 8
		.amdhsa_user_sgpr_private_segment_buffer 1
		.amdhsa_user_sgpr_dispatch_ptr 1
		.amdhsa_user_sgpr_queue_ptr 0
		.amdhsa_user_sgpr_kernarg_segment_ptr 1
		.amdhsa_user_sgpr_dispatch_id 0
		.amdhsa_user_sgpr_flat_scratch_init 0
		.amdhsa_user_sgpr_kernarg_preload_length 0
		.amdhsa_user_sgpr_kernarg_preload_offset 0
		.amdhsa_user_sgpr_private_segment_size 0
		.amdhsa_uses_dynamic_stack 0
		.amdhsa_system_sgpr_private_segment_wavefront_offset 0
		.amdhsa_system_sgpr_workgroup_id_x 1
		.amdhsa_system_sgpr_workgroup_id_y 1
		.amdhsa_system_sgpr_workgroup_id_z 1
		.amdhsa_system_sgpr_workgroup_info 0
		.amdhsa_system_vgpr_workitem_id 2
		.amdhsa_next_free_vgpr 50
		.amdhsa_next_free_sgpr 38
		.amdhsa_accum_offset 52
		.amdhsa_reserve_vcc 1
		.amdhsa_reserve_flat_scratch 0
		.amdhsa_float_round_mode_32 0
		.amdhsa_float_round_mode_16_64 0
		.amdhsa_float_denorm_mode_32 3
		.amdhsa_float_denorm_mode_16_64 3
		.amdhsa_dx10_clamp 1
		.amdhsa_ieee_mode 1
		.amdhsa_fp16_overflow 0
		.amdhsa_tg_split 0
		.amdhsa_exception_fp_ieee_invalid_op 0
		.amdhsa_exception_fp_denorm_src 0
		.amdhsa_exception_fp_ieee_div_zero 0
		.amdhsa_exception_fp_ieee_overflow 0
		.amdhsa_exception_fp_ieee_underflow 0
		.amdhsa_exception_fp_ieee_inexact 0
		.amdhsa_exception_int_div_zero 0
	.end_amdhsa_kernel
	.section	.text._ZN9rocsolver6v33100L16mfma_gemm_kernelI19rocblas_complex_numIfEiS3_PKPS3_S6_S4_EEv18rocblas_operation_S7_T0_S8_S8_T1_T2_lS8_S8_lT3_lS8_S8_lS9_T4_lS8_S8_l,"axG",@progbits,_ZN9rocsolver6v33100L16mfma_gemm_kernelI19rocblas_complex_numIfEiS3_PKPS3_S6_S4_EEv18rocblas_operation_S7_T0_S8_S8_T1_T2_lS8_S8_lT3_lS8_S8_lS9_T4_lS8_S8_l,comdat
.Lfunc_end18:
	.size	_ZN9rocsolver6v33100L16mfma_gemm_kernelI19rocblas_complex_numIfEiS3_PKPS3_S6_S4_EEv18rocblas_operation_S7_T0_S8_S8_T1_T2_lS8_S8_lT3_lS8_S8_lS9_T4_lS8_S8_l, .Lfunc_end18-_ZN9rocsolver6v33100L16mfma_gemm_kernelI19rocblas_complex_numIfEiS3_PKPS3_S6_S4_EEv18rocblas_operation_S7_T0_S8_S8_T1_T2_lS8_S8_lT3_lS8_S8_lS9_T4_lS8_S8_l
                                        ; -- End function
	.section	.AMDGPU.csdata,"",@progbits
; Kernel info:
; codeLenInByte = 2128
; NumSgprs: 42
; NumVgprs: 50
; NumAgprs: 0
; TotalNumVgprs: 50
; ScratchSize: 0
; MemoryBound: 0
; FloatMode: 240
; IeeeMode: 1
; LDSByteSize: 20480 bytes/workgroup (compile time only)
; SGPRBlocks: 5
; VGPRBlocks: 6
; NumSGPRsForWavesPerEU: 42
; NumVGPRsForWavesPerEU: 50
; AccumOffset: 52
; Occupancy: 8
; WaveLimiterHint : 1
; COMPUTE_PGM_RSRC2:SCRATCH_EN: 0
; COMPUTE_PGM_RSRC2:USER_SGPR: 8
; COMPUTE_PGM_RSRC2:TRAP_HANDLER: 0
; COMPUTE_PGM_RSRC2:TGID_X_EN: 1
; COMPUTE_PGM_RSRC2:TGID_Y_EN: 1
; COMPUTE_PGM_RSRC2:TGID_Z_EN: 1
; COMPUTE_PGM_RSRC2:TIDIG_COMP_CNT: 2
; COMPUTE_PGM_RSRC3_GFX90A:ACCUM_OFFSET: 12
; COMPUTE_PGM_RSRC3_GFX90A:TG_SPLIT: 0
	.section	.text._ZN9rocsolver6v33100L11gemm_kernelI19rocblas_complex_numIfEiPKS3_PKPS3_S8_S6_EEvT0_S9_S9_T1_bT2_lS9_S9_lbT3_lS9_S9_lSA_T4_lS9_S9_l,"axG",@progbits,_ZN9rocsolver6v33100L11gemm_kernelI19rocblas_complex_numIfEiPKS3_PKPS3_S8_S6_EEvT0_S9_S9_T1_bT2_lS9_S9_lbT3_lS9_S9_lSA_T4_lS9_S9_l,comdat
	.globl	_ZN9rocsolver6v33100L11gemm_kernelI19rocblas_complex_numIfEiPKS3_PKPS3_S8_S6_EEvT0_S9_S9_T1_bT2_lS9_S9_lbT3_lS9_S9_lSA_T4_lS9_S9_l ; -- Begin function _ZN9rocsolver6v33100L11gemm_kernelI19rocblas_complex_numIfEiPKS3_PKPS3_S8_S6_EEvT0_S9_S9_T1_bT2_lS9_S9_lbT3_lS9_S9_lSA_T4_lS9_S9_l
	.p2align	8
	.type	_ZN9rocsolver6v33100L11gemm_kernelI19rocblas_complex_numIfEiPKS3_PKPS3_S8_S6_EEvT0_S9_S9_T1_bT2_lS9_S9_lbT3_lS9_S9_lSA_T4_lS9_S9_l,@function
_ZN9rocsolver6v33100L11gemm_kernelI19rocblas_complex_numIfEiPKS3_PKPS3_S8_S6_EEvT0_S9_S9_T1_bT2_lS9_S9_lbT3_lS9_S9_lSA_T4_lS9_S9_l: ; @_ZN9rocsolver6v33100L11gemm_kernelI19rocblas_complex_numIfEiPKS3_PKPS3_S8_S6_EEvT0_S9_S9_T1_bT2_lS9_S9_lbT3_lS9_S9_lSA_T4_lS9_S9_l
; %bb.0:
	s_load_dword s0, s[4:5], 0x9c
	s_load_dwordx4 s[12:15], s[4:5], 0x0
	v_and_b32_e32 v1, 0x3ff, v0
	v_bfe_u32 v0, v0, 10, 10
	s_waitcnt lgkmcnt(0)
	s_lshr_b32 s1, s0, 16
	s_and_b32 s0, s0, 0xffff
	s_mul_i32 s6, s6, s0
	s_mul_i32 s7, s7, s1
	v_add_u32_e32 v8, s6, v1
	v_add_u32_e32 v9, s7, v0
	v_cmp_gt_i32_e32 vcc, s12, v8
	v_cmp_gt_i32_e64 s[0:1], s13, v9
	s_and_b64 s[0:1], vcc, s[0:1]
	s_and_saveexec_b64 s[2:3], s[0:1]
	s_cbranch_execz .LBB19_9
; %bb.1:
	s_load_dwordx2 s[16:17], s[4:5], 0x10
	s_load_dwordx4 s[0:3], s[4:5], 0x68
	s_load_dwordx2 s[12:13], s[4:5], 0x78
	s_ashr_i32 s9, s8, 31
	s_cmp_lt_i32 s14, 1
	v_mov_b32_e32 v10, 0
	s_waitcnt lgkmcnt(0)
	s_load_dwordx2 s[10:11], s[16:17], 0x0
	s_load_dwordx2 s[6:7], s[0:1], 0x0
	v_mov_b32_e32 v11, 0
	s_cbranch_scc1 .LBB19_8
; %bb.2:
	s_load_dword s15, s[4:5], 0x18
	s_load_dwordx4 s[20:23], s[4:5], 0x20
	s_load_dwordx2 s[0:1], s[4:5], 0x30
	s_load_dword s30, s[4:5], 0x40
	s_load_dwordx4 s[24:27], s[4:5], 0x48
	s_lshl_b64 s[18:19], s[8:9], 3
	s_waitcnt lgkmcnt(0)
	s_add_u32 s20, s20, s18
	s_addc_u32 s21, s21, s19
	s_load_dwordx2 s[28:29], s[20:21], 0x0
	s_load_dwordx2 s[16:17], s[4:5], 0x58
	s_add_u32 s18, s24, s18
	s_addc_u32 s19, s25, s19
	s_bitcmp1_b32 s15, 0
	s_load_dwordx2 s[24:25], s[18:19], 0x0
	s_cselect_b64 s[18:19], -1, 0
	s_xor_b64 s[18:19], s[18:19], -1
	s_bitcmp1_b32 s30, 0
	s_cselect_b64 s[20:21], -1, 0
	s_lshl_b64 s[22:23], s[22:23], 3
	s_waitcnt lgkmcnt(0)
	s_add_u32 s15, s28, s22
	s_addc_u32 s28, s29, s23
	s_lshl_b64 s[22:23], s[26:27], 3
	s_add_u32 s24, s24, s22
	s_addc_u32 s22, s25, s23
	v_mul_lo_u32 v0, v8, s0
	v_mul_lo_u32 v2, v9, s17
	v_mov_b32_e32 v10, 0
	v_mov_b32_e32 v12, s28
	;; [unrolled: 1-line block ×4, first 2 shown]
	s_branch .LBB19_4
.LBB19_3:                               ;   in Loop: Header=BB19_4 Depth=1
	v_ashrrev_i32_e32 v3, 31, v2
	v_lshlrev_b64 v[6:7], 3, v[2:3]
	v_add_co_u32_e32 v6, vcc, s24, v6
	v_addc_co_u32_e32 v7, vcc, v13, v7, vcc
	global_load_dwordx2 v[6:7], v[6:7], off
	s_add_i32 s14, s14, -1
	v_add_u32_e32 v2, s16, v2
	s_cmp_eq_u32 s14, 0
	v_add_u32_e32 v0, s1, v0
	s_waitcnt vmcnt(0)
	v_cndmask_b32_e64 v1, v7, -v7, s[20:21]
	v_mul_f32_e32 v3, v6, v5
	v_mul_f32_e32 v5, v1, v5
	v_fmac_f32_e32 v3, v1, v4
	v_fma_f32 v1, v6, v4, -v5
	v_add_f32_e32 v10, v10, v3
	v_add_f32_e32 v11, v11, v1
	s_cbranch_scc1 .LBB19_8
.LBB19_4:                               ; =>This Inner Loop Header: Depth=1
	v_ashrrev_i32_e32 v1, 31, v0
	v_lshlrev_b64 v[4:5], 3, v[0:1]
	v_add_co_u32_e32 v6, vcc, s15, v4
	v_addc_co_u32_e32 v7, vcc, v12, v5, vcc
	s_and_b64 vcc, exec, s[18:19]
	s_cbranch_vccz .LBB19_6
; %bb.5:                                ;   in Loop: Header=BB19_4 Depth=1
	global_load_dwordx2 v[4:5], v[6:7], off
	s_cbranch_execnz .LBB19_3
	s_branch .LBB19_7
.LBB19_6:                               ;   in Loop: Header=BB19_4 Depth=1
                                        ; implicit-def: $vgpr5
.LBB19_7:                               ;   in Loop: Header=BB19_4 Depth=1
	global_load_dwordx2 v[4:5], v[6:7], off
	s_waitcnt vmcnt(0)
	v_xor_b32_e32 v5, 0x80000000, v5
	s_branch .LBB19_3
.LBB19_8:
	s_load_dwordx4 s[16:19], s[4:5], 0x80
	s_waitcnt lgkmcnt(0)
	v_mul_f32_e32 v4, s11, v10
	v_mul_f32_e32 v5, s10, v10
	v_fma_f32 v4, s10, v11, -v4
	v_fmac_f32_e32 v5, s11, v11
	s_mul_i32 s1, s8, s19
	s_mul_hi_u32 s4, s8, s18
	s_mul_i32 s5, s9, s18
	s_add_i32 s1, s4, s1
	s_mul_i32 s0, s8, s18
	s_add_i32 s1, s1, s5
	s_lshl_b64 s[0:1], s[0:1], 3
	s_add_u32 s2, s2, s0
	s_addc_u32 s3, s3, s1
	s_lshl_b64 s[0:1], s[12:13], 3
	s_add_u32 s2, s2, s0
	v_mul_lo_u32 v0, v8, s16
	s_addc_u32 s3, s3, s1
	v_mad_u64_u32 v[0:1], s[0:1], v9, s17, v[0:1]
	v_ashrrev_i32_e32 v1, 31, v0
	v_lshlrev_b64 v[0:1], 3, v[0:1]
	v_mov_b32_e32 v2, s3
	v_add_co_u32_e32 v0, vcc, s2, v0
	v_addc_co_u32_e32 v1, vcc, v2, v1, vcc
	global_load_dwordx2 v[2:3], v[0:1], off
	s_waitcnt vmcnt(0)
	v_mul_f32_e32 v6, s7, v3
	v_mul_f32_e32 v3, s6, v3
	v_fma_f32 v6, s6, v2, -v6
	v_fmac_f32_e32 v3, s7, v2
	v_add_f32_e32 v2, v4, v6
	v_add_f32_e32 v3, v5, v3
	global_store_dwordx2 v[0:1], v[2:3], off
.LBB19_9:
	s_endpgm
	.section	.rodata,"a",@progbits
	.p2align	6, 0x0
	.amdhsa_kernel _ZN9rocsolver6v33100L11gemm_kernelI19rocblas_complex_numIfEiPKS3_PKPS3_S8_S6_EEvT0_S9_S9_T1_bT2_lS9_S9_lbT3_lS9_S9_lSA_T4_lS9_S9_l
		.amdhsa_group_segment_fixed_size 0
		.amdhsa_private_segment_fixed_size 0
		.amdhsa_kernarg_size 400
		.amdhsa_user_sgpr_count 6
		.amdhsa_user_sgpr_private_segment_buffer 1
		.amdhsa_user_sgpr_dispatch_ptr 0
		.amdhsa_user_sgpr_queue_ptr 0
		.amdhsa_user_sgpr_kernarg_segment_ptr 1
		.amdhsa_user_sgpr_dispatch_id 0
		.amdhsa_user_sgpr_flat_scratch_init 0
		.amdhsa_user_sgpr_kernarg_preload_length 0
		.amdhsa_user_sgpr_kernarg_preload_offset 0
		.amdhsa_user_sgpr_private_segment_size 0
		.amdhsa_uses_dynamic_stack 0
		.amdhsa_system_sgpr_private_segment_wavefront_offset 0
		.amdhsa_system_sgpr_workgroup_id_x 1
		.amdhsa_system_sgpr_workgroup_id_y 1
		.amdhsa_system_sgpr_workgroup_id_z 1
		.amdhsa_system_sgpr_workgroup_info 0
		.amdhsa_system_vgpr_workitem_id 1
		.amdhsa_next_free_vgpr 14
		.amdhsa_next_free_sgpr 31
		.amdhsa_accum_offset 16
		.amdhsa_reserve_vcc 1
		.amdhsa_reserve_flat_scratch 0
		.amdhsa_float_round_mode_32 0
		.amdhsa_float_round_mode_16_64 0
		.amdhsa_float_denorm_mode_32 3
		.amdhsa_float_denorm_mode_16_64 3
		.amdhsa_dx10_clamp 1
		.amdhsa_ieee_mode 1
		.amdhsa_fp16_overflow 0
		.amdhsa_tg_split 0
		.amdhsa_exception_fp_ieee_invalid_op 0
		.amdhsa_exception_fp_denorm_src 0
		.amdhsa_exception_fp_ieee_div_zero 0
		.amdhsa_exception_fp_ieee_overflow 0
		.amdhsa_exception_fp_ieee_underflow 0
		.amdhsa_exception_fp_ieee_inexact 0
		.amdhsa_exception_int_div_zero 0
	.end_amdhsa_kernel
	.section	.text._ZN9rocsolver6v33100L11gemm_kernelI19rocblas_complex_numIfEiPKS3_PKPS3_S8_S6_EEvT0_S9_S9_T1_bT2_lS9_S9_lbT3_lS9_S9_lSA_T4_lS9_S9_l,"axG",@progbits,_ZN9rocsolver6v33100L11gemm_kernelI19rocblas_complex_numIfEiPKS3_PKPS3_S8_S6_EEvT0_S9_S9_T1_bT2_lS9_S9_lbT3_lS9_S9_lSA_T4_lS9_S9_l,comdat
.Lfunc_end19:
	.size	_ZN9rocsolver6v33100L11gemm_kernelI19rocblas_complex_numIfEiPKS3_PKPS3_S8_S6_EEvT0_S9_S9_T1_bT2_lS9_S9_lbT3_lS9_S9_lSA_T4_lS9_S9_l, .Lfunc_end19-_ZN9rocsolver6v33100L11gemm_kernelI19rocblas_complex_numIfEiPKS3_PKPS3_S8_S6_EEvT0_S9_S9_T1_bT2_lS9_S9_lbT3_lS9_S9_lSA_T4_lS9_S9_l
                                        ; -- End function
	.section	.AMDGPU.csdata,"",@progbits
; Kernel info:
; codeLenInByte = 652
; NumSgprs: 35
; NumVgprs: 14
; NumAgprs: 0
; TotalNumVgprs: 14
; ScratchSize: 0
; MemoryBound: 0
; FloatMode: 240
; IeeeMode: 1
; LDSByteSize: 0 bytes/workgroup (compile time only)
; SGPRBlocks: 4
; VGPRBlocks: 1
; NumSGPRsForWavesPerEU: 35
; NumVGPRsForWavesPerEU: 14
; AccumOffset: 16
; Occupancy: 8
; WaveLimiterHint : 1
; COMPUTE_PGM_RSRC2:SCRATCH_EN: 0
; COMPUTE_PGM_RSRC2:USER_SGPR: 6
; COMPUTE_PGM_RSRC2:TRAP_HANDLER: 0
; COMPUTE_PGM_RSRC2:TGID_X_EN: 1
; COMPUTE_PGM_RSRC2:TGID_Y_EN: 1
; COMPUTE_PGM_RSRC2:TGID_Z_EN: 1
; COMPUTE_PGM_RSRC2:TIDIG_COMP_CNT: 1
; COMPUTE_PGM_RSRC3_GFX90A:ACCUM_OFFSET: 3
; COMPUTE_PGM_RSRC3_GFX90A:TG_SPLIT: 0
	.section	.text._ZN9rocsolver6v33100L11gemm_kernelI19rocblas_complex_numIfEiS3_PKPS3_S6_S4_EEvT0_S7_S7_T1_bT2_lS7_S7_lbT3_lS7_S7_lS8_T4_lS7_S7_l,"axG",@progbits,_ZN9rocsolver6v33100L11gemm_kernelI19rocblas_complex_numIfEiS3_PKPS3_S6_S4_EEvT0_S7_S7_T1_bT2_lS7_S7_lbT3_lS7_S7_lS8_T4_lS7_S7_l,comdat
	.globl	_ZN9rocsolver6v33100L11gemm_kernelI19rocblas_complex_numIfEiS3_PKPS3_S6_S4_EEvT0_S7_S7_T1_bT2_lS7_S7_lbT3_lS7_S7_lS8_T4_lS7_S7_l ; -- Begin function _ZN9rocsolver6v33100L11gemm_kernelI19rocblas_complex_numIfEiS3_PKPS3_S6_S4_EEvT0_S7_S7_T1_bT2_lS7_S7_lbT3_lS7_S7_lS8_T4_lS7_S7_l
	.p2align	8
	.type	_ZN9rocsolver6v33100L11gemm_kernelI19rocblas_complex_numIfEiS3_PKPS3_S6_S4_EEvT0_S7_S7_T1_bT2_lS7_S7_lbT3_lS7_S7_lS8_T4_lS7_S7_l,@function
_ZN9rocsolver6v33100L11gemm_kernelI19rocblas_complex_numIfEiS3_PKPS3_S6_S4_EEvT0_S7_S7_T1_bT2_lS7_S7_lbT3_lS7_S7_lS8_T4_lS7_S7_l: ; @_ZN9rocsolver6v33100L11gemm_kernelI19rocblas_complex_numIfEiS3_PKPS3_S6_S4_EEvT0_S7_S7_T1_bT2_lS7_S7_lbT3_lS7_S7_lS8_T4_lS7_S7_l
; %bb.0:
	s_load_dword s9, s[4:5], 0x94
	s_load_dwordx4 s[0:3], s[4:5], 0x0
	v_and_b32_e32 v1, 0x3ff, v0
	v_bfe_u32 v0, v0, 10, 10
	s_waitcnt lgkmcnt(0)
	s_lshr_b32 s10, s9, 16
	s_and_b32 s9, s9, 0xffff
	s_mul_i32 s6, s6, s9
	s_mul_i32 s7, s7, s10
	v_add_u32_e32 v8, s6, v1
	v_add_u32_e32 v9, s7, v0
	v_cmp_gt_i32_e32 vcc, s0, v8
	v_cmp_gt_i32_e64 s[0:1], s1, v9
	s_and_b64 s[0:1], vcc, s[0:1]
	s_and_saveexec_b64 s[6:7], s[0:1]
	s_cbranch_execz .LBB20_9
; %bb.1:
	s_load_dwordx2 s[6:7], s[4:5], 0x10
	s_load_dwordx2 s[0:1], s[4:5], 0x60
	s_ashr_i32 s9, s8, 31
	s_cmp_lt_i32 s2, 1
	v_mov_b32_e32 v10, 0
	v_mov_b32_e32 v11, 0
	s_cbranch_scc1 .LBB20_8
; %bb.2:
	s_load_dwordx4 s[16:19], s[4:5], 0x18
	s_load_dwordx2 s[10:11], s[4:5], 0x28
	s_load_dword s26, s[4:5], 0x38
	s_load_dwordx4 s[20:23], s[4:5], 0x40
	s_load_dwordx2 s[12:13], s[4:5], 0x50
	s_lshl_b64 s[14:15], s[8:9], 3
	s_waitcnt lgkmcnt(0)
	s_add_u32 s16, s16, s14
	s_addc_u32 s17, s17, s15
	s_add_u32 s14, s20, s14
	s_addc_u32 s15, s21, s15
	s_load_dwordx2 s[24:25], s[16:17], 0x0
	s_bitcmp1_b32 s7, 0
	s_load_dwordx2 s[20:21], s[14:15], 0x0
	s_cselect_b64 s[14:15], -1, 0
	s_xor_b64 s[14:15], s[14:15], -1
	s_bitcmp1_b32 s26, 0
	s_cselect_b64 s[16:17], -1, 0
	s_lshl_b64 s[18:19], s[18:19], 3
	s_waitcnt lgkmcnt(0)
	s_add_u32 s7, s24, s18
	s_addc_u32 s24, s25, s19
	s_lshl_b64 s[18:19], s[22:23], 3
	s_add_u32 s20, s20, s18
	s_addc_u32 s18, s21, s19
	v_mul_lo_u32 v0, v8, s10
	v_mul_lo_u32 v2, v9, s13
	v_mov_b32_e32 v10, 0
	v_mov_b32_e32 v12, s24
	;; [unrolled: 1-line block ×4, first 2 shown]
	s_branch .LBB20_4
.LBB20_3:                               ;   in Loop: Header=BB20_4 Depth=1
	v_ashrrev_i32_e32 v3, 31, v2
	v_lshlrev_b64 v[6:7], 3, v[2:3]
	v_add_co_u32_e32 v6, vcc, s20, v6
	v_addc_co_u32_e32 v7, vcc, v13, v7, vcc
	global_load_dwordx2 v[6:7], v[6:7], off
	s_add_i32 s2, s2, -1
	v_add_u32_e32 v2, s12, v2
	s_cmp_eq_u32 s2, 0
	v_add_u32_e32 v0, s11, v0
	s_waitcnt vmcnt(0)
	v_cndmask_b32_e64 v1, v7, -v7, s[16:17]
	v_mul_f32_e32 v3, v6, v5
	v_mul_f32_e32 v5, v1, v5
	v_fmac_f32_e32 v3, v1, v4
	v_fma_f32 v1, v6, v4, -v5
	v_add_f32_e32 v10, v10, v3
	v_add_f32_e32 v11, v11, v1
	s_cbranch_scc1 .LBB20_8
.LBB20_4:                               ; =>This Inner Loop Header: Depth=1
	v_ashrrev_i32_e32 v1, 31, v0
	v_lshlrev_b64 v[4:5], 3, v[0:1]
	v_add_co_u32_e32 v6, vcc, s7, v4
	v_addc_co_u32_e32 v7, vcc, v12, v5, vcc
	s_and_b64 vcc, exec, s[14:15]
	s_cbranch_vccz .LBB20_6
; %bb.5:                                ;   in Loop: Header=BB20_4 Depth=1
	global_load_dwordx2 v[4:5], v[6:7], off
	s_cbranch_execnz .LBB20_3
	s_branch .LBB20_7
.LBB20_6:                               ;   in Loop: Header=BB20_4 Depth=1
                                        ; implicit-def: $vgpr5
.LBB20_7:                               ;   in Loop: Header=BB20_4 Depth=1
	global_load_dwordx2 v[4:5], v[6:7], off
	s_waitcnt vmcnt(0)
	v_xor_b32_e32 v5, 0x80000000, v5
	s_branch .LBB20_3
.LBB20_8:
	s_load_dwordx8 s[12:19], s[4:5], 0x68
	s_waitcnt lgkmcnt(0)
	v_mul_f32_e32 v4, s6, v10
	v_mul_f32_e32 v5, s3, v10
	v_fma_f32 v4, s3, v11, -v4
	v_fmac_f32_e32 v5, s6, v11
	s_mul_i32 s2, s8, s19
	s_mul_hi_u32 s5, s8, s18
	s_mul_i32 s7, s9, s18
	s_add_i32 s2, s5, s2
	s_mul_i32 s4, s8, s18
	s_add_i32 s5, s2, s7
	s_lshl_b64 s[4:5], s[4:5], 3
	s_add_u32 s2, s12, s4
	s_addc_u32 s7, s13, s5
	s_lshl_b64 s[4:5], s[14:15], 3
	s_add_u32 s2, s2, s4
	v_mul_lo_u32 v0, v8, s16
	s_addc_u32 s7, s7, s5
	v_mad_u64_u32 v[0:1], s[4:5], v9, s17, v[0:1]
	v_ashrrev_i32_e32 v1, 31, v0
	v_lshlrev_b64 v[0:1], 3, v[0:1]
	v_mov_b32_e32 v2, s7
	v_add_co_u32_e32 v0, vcc, s2, v0
	v_addc_co_u32_e32 v1, vcc, v2, v1, vcc
	global_load_dwordx2 v[2:3], v[0:1], off
	s_waitcnt vmcnt(0)
	v_mul_f32_e32 v6, s1, v3
	v_mul_f32_e32 v3, s0, v3
	v_fma_f32 v6, s0, v2, -v6
	v_fmac_f32_e32 v3, s1, v2
	v_add_f32_e32 v2, v4, v6
	v_add_f32_e32 v3, v5, v3
	global_store_dwordx2 v[0:1], v[2:3], off
.LBB20_9:
	s_endpgm
	.section	.rodata,"a",@progbits
	.p2align	6, 0x0
	.amdhsa_kernel _ZN9rocsolver6v33100L11gemm_kernelI19rocblas_complex_numIfEiS3_PKPS3_S6_S4_EEvT0_S7_S7_T1_bT2_lS7_S7_lbT3_lS7_S7_lS8_T4_lS7_S7_l
		.amdhsa_group_segment_fixed_size 0
		.amdhsa_private_segment_fixed_size 0
		.amdhsa_kernarg_size 392
		.amdhsa_user_sgpr_count 6
		.amdhsa_user_sgpr_private_segment_buffer 1
		.amdhsa_user_sgpr_dispatch_ptr 0
		.amdhsa_user_sgpr_queue_ptr 0
		.amdhsa_user_sgpr_kernarg_segment_ptr 1
		.amdhsa_user_sgpr_dispatch_id 0
		.amdhsa_user_sgpr_flat_scratch_init 0
		.amdhsa_user_sgpr_kernarg_preload_length 0
		.amdhsa_user_sgpr_kernarg_preload_offset 0
		.amdhsa_user_sgpr_private_segment_size 0
		.amdhsa_uses_dynamic_stack 0
		.amdhsa_system_sgpr_private_segment_wavefront_offset 0
		.amdhsa_system_sgpr_workgroup_id_x 1
		.amdhsa_system_sgpr_workgroup_id_y 1
		.amdhsa_system_sgpr_workgroup_id_z 1
		.amdhsa_system_sgpr_workgroup_info 0
		.amdhsa_system_vgpr_workitem_id 1
		.amdhsa_next_free_vgpr 14
		.amdhsa_next_free_sgpr 27
		.amdhsa_accum_offset 16
		.amdhsa_reserve_vcc 1
		.amdhsa_reserve_flat_scratch 0
		.amdhsa_float_round_mode_32 0
		.amdhsa_float_round_mode_16_64 0
		.amdhsa_float_denorm_mode_32 3
		.amdhsa_float_denorm_mode_16_64 3
		.amdhsa_dx10_clamp 1
		.amdhsa_ieee_mode 1
		.amdhsa_fp16_overflow 0
		.amdhsa_tg_split 0
		.amdhsa_exception_fp_ieee_invalid_op 0
		.amdhsa_exception_fp_denorm_src 0
		.amdhsa_exception_fp_ieee_div_zero 0
		.amdhsa_exception_fp_ieee_overflow 0
		.amdhsa_exception_fp_ieee_underflow 0
		.amdhsa_exception_fp_ieee_inexact 0
		.amdhsa_exception_int_div_zero 0
	.end_amdhsa_kernel
	.section	.text._ZN9rocsolver6v33100L11gemm_kernelI19rocblas_complex_numIfEiS3_PKPS3_S6_S4_EEvT0_S7_S7_T1_bT2_lS7_S7_lbT3_lS7_S7_lS8_T4_lS7_S7_l,"axG",@progbits,_ZN9rocsolver6v33100L11gemm_kernelI19rocblas_complex_numIfEiS3_PKPS3_S6_S4_EEvT0_S7_S7_T1_bT2_lS7_S7_lbT3_lS7_S7_lS8_T4_lS7_S7_l,comdat
.Lfunc_end20:
	.size	_ZN9rocsolver6v33100L11gemm_kernelI19rocblas_complex_numIfEiS3_PKPS3_S6_S4_EEvT0_S7_S7_T1_bT2_lS7_S7_lbT3_lS7_S7_lS8_T4_lS7_S7_l, .Lfunc_end20-_ZN9rocsolver6v33100L11gemm_kernelI19rocblas_complex_numIfEiS3_PKPS3_S6_S4_EEvT0_S7_S7_T1_bT2_lS7_S7_lbT3_lS7_S7_lS8_T4_lS7_S7_l
                                        ; -- End function
	.section	.AMDGPU.csdata,"",@progbits
; Kernel info:
; codeLenInByte = 616
; NumSgprs: 31
; NumVgprs: 14
; NumAgprs: 0
; TotalNumVgprs: 14
; ScratchSize: 0
; MemoryBound: 0
; FloatMode: 240
; IeeeMode: 1
; LDSByteSize: 0 bytes/workgroup (compile time only)
; SGPRBlocks: 3
; VGPRBlocks: 1
; NumSGPRsForWavesPerEU: 31
; NumVGPRsForWavesPerEU: 14
; AccumOffset: 16
; Occupancy: 8
; WaveLimiterHint : 1
; COMPUTE_PGM_RSRC2:SCRATCH_EN: 0
; COMPUTE_PGM_RSRC2:USER_SGPR: 6
; COMPUTE_PGM_RSRC2:TRAP_HANDLER: 0
; COMPUTE_PGM_RSRC2:TGID_X_EN: 1
; COMPUTE_PGM_RSRC2:TGID_Y_EN: 1
; COMPUTE_PGM_RSRC2:TGID_Z_EN: 1
; COMPUTE_PGM_RSRC2:TIDIG_COMP_CNT: 1
; COMPUTE_PGM_RSRC3_GFX90A:ACCUM_OFFSET: 3
; COMPUTE_PGM_RSRC3_GFX90A:TG_SPLIT: 0
	.section	.text._ZN9rocsolver6v33100L16mfma_gemm_kernelI19rocblas_complex_numIfEiPKS3_PKPS3_S6_S6_EEv18rocblas_operation_S9_T0_SA_SA_T1_T2_lSA_SA_lT3_lSA_SA_lSB_T4_lSA_SA_l,"axG",@progbits,_ZN9rocsolver6v33100L16mfma_gemm_kernelI19rocblas_complex_numIfEiPKS3_PKPS3_S6_S6_EEv18rocblas_operation_S9_T0_SA_SA_T1_T2_lSA_SA_lT3_lSA_SA_lSB_T4_lSA_SA_l,comdat
	.globl	_ZN9rocsolver6v33100L16mfma_gemm_kernelI19rocblas_complex_numIfEiPKS3_PKPS3_S6_S6_EEv18rocblas_operation_S9_T0_SA_SA_T1_T2_lSA_SA_lT3_lSA_SA_lSB_T4_lSA_SA_l ; -- Begin function _ZN9rocsolver6v33100L16mfma_gemm_kernelI19rocblas_complex_numIfEiPKS3_PKPS3_S6_S6_EEv18rocblas_operation_S9_T0_SA_SA_T1_T2_lSA_SA_lT3_lSA_SA_lSB_T4_lSA_SA_l
	.p2align	8
	.type	_ZN9rocsolver6v33100L16mfma_gemm_kernelI19rocblas_complex_numIfEiPKS3_PKPS3_S6_S6_EEv18rocblas_operation_S9_T0_SA_SA_T1_T2_lSA_SA_lT3_lSA_SA_lSB_T4_lSA_SA_l,@function
_ZN9rocsolver6v33100L16mfma_gemm_kernelI19rocblas_complex_numIfEiPKS3_PKPS3_S6_S6_EEv18rocblas_operation_S9_T0_SA_SA_T1_T2_lSA_SA_lT3_lSA_SA_lSB_T4_lSA_SA_l: ; @_ZN9rocsolver6v33100L16mfma_gemm_kernelI19rocblas_complex_numIfEiPKS3_PKPS3_S6_S6_EEv18rocblas_operation_S9_T0_SA_SA_T1_T2_lSA_SA_lT3_lSA_SA_lSB_T4_lSA_SA_l
; %bb.0:
	s_load_dword s0, s[6:7], 0x94
	s_load_dwordx4 s[20:23], s[6:7], 0x0
	v_and_b32_e32 v17, 0x3ff, v0
	v_bfe_u32 v1, v0, 10, 10
	v_lshrrev_b32_e32 v2, 6, v17
	s_waitcnt lgkmcnt(0)
	s_lshr_b32 s1, s0, 16
	s_bfe_u32 s0, s0, 0xa0006
	s_mul_i32 s8, s8, s0
	s_mul_i32 s9, s9, s1
	v_add_lshl_u32 v18, s8, v2, 4
	v_add_u32_e32 v2, s9, v1
	v_lshlrev_b32_e32 v19, 4, v2
	v_cmp_gt_i32_e32 vcc, s22, v18
	v_cmp_gt_i32_e64 s[0:1], s23, v19
	s_and_b64 s[0:1], vcc, s[0:1]
	s_and_saveexec_b64 s[2:3], s[0:1]
	s_cbranch_execz .LBB21_37
; %bb.1:
	s_load_dwordx2 s[8:9], s[4:5], 0x4
	s_load_dword s33, s[6:7], 0x10
	s_load_dwordx4 s[0:3], s[6:7], 0x18
	s_load_dwordx8 s[12:19], s[6:7], 0x58
	v_bfe_u32 v0, v0, 20, 10
	s_waitcnt lgkmcnt(0)
	s_lshr_b32 s4, s8, 16
	s_mul_i32 s4, s4, s9
	v_mul_lo_u32 v2, s4, v17
	s_ashr_i32 s4, s22, 31
	s_lshr_b32 s4, s4, 28
	s_add_i32 s4, s22, s4
	s_and_b32 s4, s4, -16
	v_mul_u32_u24_e32 v1, s9, v1
	s_sub_i32 s4, s22, s4
	v_add3_u32 v0, v2, v1, v0
	v_mov_b32_e32 v1, s4
	s_ashr_i32 s4, s23, 31
	s_lshr_b32 s4, s4, 28
	v_mul_lo_u32 v24, v0, 20
	v_add_u32_e32 v0, 16, v18
	s_add_i32 s4, s23, s4
	v_cmp_lt_i32_e32 vcc, s22, v0
	v_add_u32_e32 v0, 16, v19
	s_and_b32 s4, s4, -16
	v_cndmask_b32_e32 v16, 16, v1, vcc
	s_sub_i32 s4, s23, s4
	v_cmp_lt_i32_e32 vcc, s23, v0
	s_load_dwordx2 s[28:29], s[0:1], 0x0
	s_load_dwordx2 s[22:23], s[14:15], 0x0
	v_mov_b32_e32 v1, s4
	v_cndmask_b32_e32 v20, 16, v1, vcc
	s_ashr_i32 s11, s10, 31
	v_bfe_u32 v21, v17, 2, 4
	v_and_b32_e32 v22, 3, v17
	s_cmp_lt_i32 s33, 1
	v_mov_b32_e32 v1, 0
	s_mov_b32 s34, 0
	v_cmp_lt_i32_e64 s[0:1], v21, v20
	v_mbcnt_lo_u32_b32 v23, -1, 0
	v_mov_b32_e32 v2, 0
	v_mov_b32_e32 v13, 0
	;; [unrolled: 1-line block ×7, first 2 shown]
	ds_write2_b32 v24, v1, v1 offset0:2 offset1:3
	ds_write2_b32 v24, v1, v1 offset1:1
	ds_write_b32 v24, v1 offset:16
	s_cbranch_scc1 .LBB21_29
; %bb.2:
	s_lshl_b64 s[4:5], s[10:11], 3
	s_add_u32 s2, s2, s4
	s_addc_u32 s3, s3, s5
	s_load_dwordx4 s[24:27], s[6:7], 0x28
	s_load_dwordx2 s[4:5], s[2:3], 0x0
	s_load_dwordx4 s[36:39], s[6:7], 0x40
	s_load_dwordx2 s[30:31], s[6:7], 0x50
	v_and_b32_e32 v2, 63, v17
	v_lshrrev_b32_e32 v29, 4, v2
	s_waitcnt lgkmcnt(0)
	s_lshl_b64 s[2:3], s[24:25], 3
	s_add_u32 s4, s4, s2
	s_addc_u32 s5, s5, s3
	s_mul_i32 s2, s10, s13
	s_mul_hi_u32 s3, s10, s12
	s_add_i32 s2, s3, s2
	s_mul_i32 s3, s11, s12
	s_add_i32 s3, s2, s3
	s_mul_i32 s2, s10, s12
	s_lshl_b64 s[2:3], s[2:3], 3
	s_add_u32 s8, s36, s2
	s_addc_u32 s9, s37, s3
	s_lshl_b64 s[2:3], s[38:39], 3
	s_add_u32 s2, s8, s2
	s_addc_u32 s3, s9, s3
	s_cmpk_lg_i32 s20, 0x6f
	s_cselect_b64 s[12:13], -1, 0
	s_cmpk_eq_i32 s20, 0x6f
	s_cselect_b32 s8, s26, s27
	v_mul_lo_u32 v0, v18, s8
	v_ashrrev_i32_e32 v1, 31, v0
	s_cmpk_lg_i32 s21, 0x6f
	v_lshlrev_b64 v[0:1], 3, v[0:1]
	s_cselect_b64 s[14:15], -1, 0
	s_cmpk_eq_i32 s21, 0x6f
	v_add_co_u32_e32 v25, vcc, s4, v0
	s_cselect_b32 s4, s31, s30
	v_mov_b32_e32 v3, s5
	v_mul_lo_u32 v0, v19, s4
	v_addc_co_u32_e32 v26, vcc, v3, v1, vcc
	v_ashrrev_i32_e32 v1, 31, v0
	v_lshlrev_b64 v[0:1], 3, v[0:1]
	v_mov_b32_e32 v3, s3
	v_add_co_u32_e32 v27, vcc, s2, v0
	v_addc_co_u32_e32 v28, vcc, v3, v1, vcc
	v_and_b32_e32 v1, 15, v17
	v_mul_lo_u32 v0, v1, s26
	s_cmpk_eq_i32 s20, 0x71
	v_mad_u64_u32 v[4:5], s[36:37], s27, v29, v[0:1]
	v_mul_lo_u32 v0, s26, v22
	s_cselect_b64 s[24:25], -1, 0
	s_cmpk_eq_i32 s21, 0x71
	v_mad_u64_u32 v[6:7], s[36:37], v21, s27, v[0:1]
	v_mul_lo_u32 v0, s30, v22
	v_lshl_or_b32 v3, v1, 2, v29
	v_cmp_lt_i32_e64 s[4:5], v1, v16
	v_cmp_lt_i32_e64 s[8:9], v1, v20
	v_mul_lo_u32 v2, v1, s30
	s_cselect_b64 s[20:21], -1, 0
	s_lshl_b32 s35, s27, 2
	s_lshl_b32 s36, s26, 2
	v_mad_u64_u32 v[8:9], s[26:27], v21, s31, v[0:1]
	v_mbcnt_hi_u32_b32 v1, -1, v23
	v_mov_b32_e32 v0, 0
	v_and_or_b32 v1, v1, 64, v3
	v_cmp_lt_i32_e64 s[2:3], v21, v16
	s_lshl_b32 s37, s30, 2
	v_mad_u64_u32 v[10:11], s[26:27], s31, v29, v[2:3]
	s_lshl_b32 s38, s31, 2
	v_lshlrev_b32_e32 v30, 2, v1
	v_mov_b32_e32 v3, v0
	v_mov_b32_e32 v2, v0
	;; [unrolled: 1-line block ×3, first 2 shown]
	s_branch .LBB21_6
.LBB21_3:                               ;   in Loop: Header=BB21_6 Depth=1
	s_or_b64 exec, exec, s[30:31]
.LBB21_4:                               ;   in Loop: Header=BB21_6 Depth=1
	s_or_b64 exec, exec, s[26:27]
	s_waitcnt vmcnt(0)
	ds_bpermute_b32 v14, v30, v14
	ds_bpermute_b32 v15, v30, v15
.LBB21_5:                               ;   in Loop: Header=BB21_6 Depth=1
	s_waitcnt vmcnt(0) lgkmcnt(0)
	v_cndmask_b32_e64 v7, v13, -v13, s[24:25]
	v_cndmask_b32_e64 v5, v15, -v15, s[20:21]
	v_mfma_f32_16x16x4f32 v[32:35], v12, v14, 0
	s_add_i32 s34, s34, 4
	v_add_u32_e32 v4, s35, v4
	v_add_u32_e32 v6, s36, v6
	;; [unrolled: 1-line block ×3, first 2 shown]
	s_cmp_ge_i32 s34, s33
	v_add_u32_e32 v10, s38, v10
	v_mfma_f32_16x16x4f32 v[40:43], v7, v5, 0
	v_mfma_f32_16x16x4f32 v[36:39], v12, v5, 0
	ds_read2_b32 v[12:13], v24 offset1:1
	ds_read2_b32 v[44:45], v24 offset0:3 offset1:4
	ds_read2_b32 v[46:47], v24 offset0:2 offset1:3
	;; [unrolled: 1-line block ×3, first 2 shown]
	s_nop 5
	v_sub_f32_e32 v35, v35, v43
	v_sub_f32_e32 v34, v34, v42
	;; [unrolled: 1-line block ×4, first 2 shown]
	s_waitcnt lgkmcnt(1)
	v_mov_b32_e32 v13, v46
	v_pk_add_f32 v[12:13], v[12:13], v[32:33]
	v_pk_add_f32 v[0:1], v[0:1], v[34:35]
	v_mfma_f32_16x16x4f32 v[32:35], v7, v14, 0
	s_waitcnt lgkmcnt(0)
	v_mov_b32_e32 v49, v44
	s_nop 7
	s_nop 0
	v_pk_add_f32 v[14:15], v[38:39], v[34:35]
	v_pk_add_f32 v[32:33], v[36:37], v[32:33]
	;; [unrolled: 1-line block ×4, first 2 shown]
	ds_write2_b32 v24, v12, v14 offset1:1
	v_mov_b32_e32 v12, v13
	v_mov_b32_e32 v5, v15
	ds_write2_b32 v24, v13, v15 offset0:2 offset1:3
	ds_write_b32 v24, v0 offset:16
	s_cbranch_scc1 .LBB21_28
.LBB21_6:                               ; =>This Inner Loop Header: Depth=1
	s_and_b64 vcc, exec, s[12:13]
	s_cbranch_vccz .LBB21_18
; %bb.7:                                ;   in Loop: Header=BB21_6 Depth=1
	v_mov_b32_e32 v12, 0
	v_mov_b32_e32 v13, 0
	s_and_saveexec_b64 s[26:27], s[2:3]
	s_cbranch_execz .LBB21_11
; %bb.8:                                ;   in Loop: Header=BB21_6 Depth=1
	v_add_u32_e32 v5, s34, v22
	v_cmp_gt_i32_e32 vcc, s33, v5
	v_mov_b32_e32 v13, 0
	v_mov_b32_e32 v12, 0
	s_and_saveexec_b64 s[30:31], vcc
	s_cbranch_execz .LBB21_10
; %bb.9:                                ;   in Loop: Header=BB21_6 Depth=1
	v_ashrrev_i32_e32 v7, 31, v6
	v_lshlrev_b64 v[12:13], 3, v[6:7]
	v_add_co_u32_e32 v12, vcc, v25, v12
	v_addc_co_u32_e32 v13, vcc, v26, v13, vcc
	global_load_dwordx2 v[12:13], v[12:13], off
.LBB21_10:                              ;   in Loop: Header=BB21_6 Depth=1
	s_or_b64 exec, exec, s[30:31]
.LBB21_11:                              ;   in Loop: Header=BB21_6 Depth=1
	s_or_b64 exec, exec, s[26:27]
	s_waitcnt vmcnt(0)
	ds_bpermute_b32 v12, v30, v12
	ds_bpermute_b32 v13, v30, v13
.LBB21_12:                              ;   in Loop: Header=BB21_6 Depth=1
	s_and_b64 vcc, exec, s[14:15]
	s_cbranch_vccz .LBB21_24
.LBB21_13:                              ;   in Loop: Header=BB21_6 Depth=1
	v_mov_b32_e32 v15, 0
	v_mov_b32_e32 v14, 0
	s_and_saveexec_b64 s[26:27], s[8:9]
	s_cbranch_execz .LBB21_17
; %bb.14:                               ;   in Loop: Header=BB21_6 Depth=1
	v_add_u32_e32 v5, s34, v29
	v_cmp_gt_i32_e32 vcc, s33, v5
	v_mov_b32_e32 v15, 0
	v_mov_b32_e32 v14, 0
	s_and_saveexec_b64 s[30:31], vcc
	s_cbranch_execz .LBB21_16
; %bb.15:                               ;   in Loop: Header=BB21_6 Depth=1
	v_ashrrev_i32_e32 v11, 31, v10
	v_lshlrev_b64 v[14:15], 3, v[10:11]
	v_add_co_u32_e32 v14, vcc, v27, v14
	v_addc_co_u32_e32 v15, vcc, v28, v15, vcc
	global_load_dwordx2 v[14:15], v[14:15], off
.LBB21_16:                              ;   in Loop: Header=BB21_6 Depth=1
	s_or_b64 exec, exec, s[30:31]
.LBB21_17:                              ;   in Loop: Header=BB21_6 Depth=1
	s_or_b64 exec, exec, s[26:27]
	s_cbranch_execnz .LBB21_5
	s_branch .LBB21_25
.LBB21_18:                              ;   in Loop: Header=BB21_6 Depth=1
                                        ; implicit-def: $vgpr13
	s_cbranch_execz .LBB21_12
; %bb.19:                               ;   in Loop: Header=BB21_6 Depth=1
	s_waitcnt lgkmcnt(0)
	v_mov_b32_e32 v13, 0
	v_mov_b32_e32 v12, 0
	s_and_saveexec_b64 s[26:27], s[4:5]
	s_cbranch_execz .LBB21_23
; %bb.20:                               ;   in Loop: Header=BB21_6 Depth=1
	v_add_u32_e32 v5, s34, v29
	v_cmp_gt_i32_e32 vcc, s33, v5
	v_mov_b32_e32 v13, 0
	v_mov_b32_e32 v12, 0
	s_and_saveexec_b64 s[30:31], vcc
	s_cbranch_execz .LBB21_22
; %bb.21:                               ;   in Loop: Header=BB21_6 Depth=1
	v_ashrrev_i32_e32 v5, 31, v4
	v_lshlrev_b64 v[12:13], 3, v[4:5]
	v_add_co_u32_e32 v12, vcc, v25, v12
	v_addc_co_u32_e32 v13, vcc, v26, v13, vcc
	global_load_dwordx2 v[12:13], v[12:13], off
.LBB21_22:                              ;   in Loop: Header=BB21_6 Depth=1
	s_or_b64 exec, exec, s[30:31]
.LBB21_23:                              ;   in Loop: Header=BB21_6 Depth=1
	s_or_b64 exec, exec, s[26:27]
	s_and_b64 vcc, exec, s[14:15]
	s_cbranch_vccnz .LBB21_13
.LBB21_24:                              ;   in Loop: Header=BB21_6 Depth=1
                                        ; implicit-def: $vgpr15
.LBB21_25:                              ;   in Loop: Header=BB21_6 Depth=1
	s_waitcnt vmcnt(0)
	v_mov_b32_e32 v14, 0
	v_mov_b32_e32 v15, 0
	s_and_saveexec_b64 s[26:27], s[0:1]
	s_cbranch_execz .LBB21_4
; %bb.26:                               ;   in Loop: Header=BB21_6 Depth=1
	v_add_u32_e32 v5, s34, v22
	v_cmp_gt_i32_e32 vcc, s33, v5
	v_mov_b32_e32 v15, 0
	v_mov_b32_e32 v14, 0
	s_and_saveexec_b64 s[30:31], vcc
	s_cbranch_execz .LBB21_3
; %bb.27:                               ;   in Loop: Header=BB21_6 Depth=1
	v_ashrrev_i32_e32 v9, 31, v8
	v_lshlrev_b64 v[14:15], 3, v[8:9]
	v_add_co_u32_e32 v14, vcc, v27, v14
	v_addc_co_u32_e32 v15, vcc, v28, v15, vcc
	global_load_dwordx2 v[14:15], v[14:15], off
	s_branch .LBB21_3
.LBB21_28:
	ds_read_b32 v4, v24
.LBB21_29:
	s_load_dwordx4 s[4:7], s[6:7], 0x78
	v_mbcnt_hi_u32_b32 v9, -1, v23
	v_and_b32_e32 v9, 64, v9
	s_waitcnt lgkmcnt(0)
	s_mul_i32 s1, s10, s7
	s_mul_hi_u32 s2, s10, s6
	s_mul_i32 s3, s11, s6
	s_add_i32 s1, s2, s1
	s_mul_i32 s0, s10, s6
	s_add_i32 s1, s1, s3
	s_lshl_b64 s[0:1], s[0:1], 3
	s_add_u32 s2, s16, s0
	s_addc_u32 s3, s17, s1
	s_lshl_b64 s[0:1], s[18:19], 3
	s_add_u32 s2, s2, s0
	v_mul_lo_u32 v6, v18, s4
	s_addc_u32 s3, s3, s1
	v_mad_u64_u32 v[6:7], s[0:1], v19, s5, v[6:7]
	v_ashrrev_i32_e32 v7, 31, v6
	v_lshlrev_b64 v[6:7], 3, v[6:7]
	v_mov_b32_e32 v8, s3
	v_add_co_u32_e32 v5, vcc, s2, v6
	v_addc_co_u32_e32 v6, vcc, v8, v7, vcc
	v_lshlrev_b32_e32 v8, 4, v17
	v_and_b32_e32 v8, 48, v8
	v_or3_b32 v8, v8, v9, v21
	v_lshlrev_b32_e32 v8, 2, v8
	ds_bpermute_b32 v9, v8, v4
	ds_bpermute_b32 v10, v8, v14
	v_lshlrev_b32_e32 v7, 2, v22
	v_cmp_lt_i32_e32 vcc, v21, v20
	v_cmp_lt_i32_e64 s[0:1], v7, v16
	v_mul_lo_u32 v4, v21, s5
	s_and_b64 s[0:1], vcc, s[0:1]
	s_and_saveexec_b64 s[2:3], s[0:1]
	s_cbranch_execz .LBB21_31
; %bb.30:
	v_mad_u64_u32 v[18:19], s[0:1], v7, s4, v[4:5]
	v_ashrrev_i32_e32 v19, 31, v18
	v_lshlrev_b64 v[18:19], 3, v[18:19]
	v_add_co_u32_e64 v18, s[0:1], v5, v18
	v_addc_co_u32_e64 v19, s[0:1], v6, v19, s[0:1]
	global_load_dwordx2 v[20:21], v[18:19], off
	s_waitcnt lgkmcnt(0)
	v_mul_f32_e32 v11, s29, v10
	v_mul_f32_e32 v12, s29, v9
	v_fma_f32 v9, s28, v9, -v11
	v_fmac_f32_e32 v12, s28, v10
	s_waitcnt vmcnt(0)
	v_mul_f32_e32 v10, s23, v21
	v_mul_f32_e32 v11, s22, v21
	v_fma_f32 v10, s22, v20, -v10
	v_fmac_f32_e32 v11, s23, v20
	v_add_f32_e32 v10, v9, v10
	v_add_f32_e32 v11, v12, v11
	global_store_dwordx2 v[18:19], v[10:11], off
.LBB21_31:
	s_or_b64 exec, exec, s[2:3]
	s_waitcnt lgkmcnt(1)
	ds_bpermute_b32 v9, v8, v13
	s_waitcnt lgkmcnt(1)
	ds_bpermute_b32 v10, v8, v15
	v_or_b32_e32 v11, 1, v7
	v_cmp_lt_i32_e64 s[0:1], v11, v16
	s_and_b64 s[0:1], vcc, s[0:1]
	s_and_saveexec_b64 s[2:3], s[0:1]
	s_cbranch_execz .LBB21_33
; %bb.32:
	v_mad_u64_u32 v[12:13], s[0:1], v11, s4, v[4:5]
	v_ashrrev_i32_e32 v13, 31, v12
	v_lshlrev_b64 v[12:13], 3, v[12:13]
	v_add_co_u32_e64 v12, s[0:1], v5, v12
	v_addc_co_u32_e64 v13, s[0:1], v6, v13, s[0:1]
	global_load_dwordx2 v[14:15], v[12:13], off
	s_waitcnt lgkmcnt(0)
	v_mul_f32_e32 v11, s29, v10
	v_mul_f32_e32 v17, s28, v10
	v_fma_f32 v10, s28, v9, -v11
	v_fmac_f32_e32 v17, s29, v9
	s_waitcnt vmcnt(0)
	v_mul_f32_e32 v9, s23, v15
	v_mul_f32_e32 v11, s22, v15
	v_fma_f32 v9, s22, v14, -v9
	v_fmac_f32_e32 v11, s23, v14
	v_add_f32_e32 v10, v10, v9
	v_add_f32_e32 v11, v17, v11
	global_store_dwordx2 v[12:13], v[10:11], off
.LBB21_33:
	s_or_b64 exec, exec, s[2:3]
	ds_bpermute_b32 v0, v8, v0
	ds_bpermute_b32 v2, v8, v2
	s_waitcnt lgkmcnt(3)
	v_or_b32_e32 v9, 2, v7
	v_cmp_lt_i32_e64 s[0:1], v9, v16
	s_and_b64 s[0:1], vcc, s[0:1]
	s_and_saveexec_b64 s[2:3], s[0:1]
	s_cbranch_execz .LBB21_35
; %bb.34:
	s_waitcnt lgkmcnt(2)
	v_mad_u64_u32 v[10:11], s[0:1], v9, s4, v[4:5]
	v_ashrrev_i32_e32 v11, 31, v10
	v_lshlrev_b64 v[10:11], 3, v[10:11]
	v_add_co_u32_e64 v10, s[0:1], v5, v10
	v_addc_co_u32_e64 v11, s[0:1], v6, v11, s[0:1]
	global_load_dwordx2 v[12:13], v[10:11], off
	s_waitcnt lgkmcnt(0)
	v_mul_f32_e32 v9, s29, v2
	v_mul_f32_e32 v2, s28, v2
	v_fma_f32 v9, s28, v0, -v9
	v_fmac_f32_e32 v2, s29, v0
	s_waitcnt vmcnt(0)
	v_mul_f32_e32 v0, s23, v13
	v_mul_f32_e32 v13, s22, v13
	v_fma_f32 v0, s22, v12, -v0
	v_fmac_f32_e32 v13, s23, v12
	v_add_f32_e32 v12, v9, v0
	v_add_f32_e32 v13, v2, v13
	global_store_dwordx2 v[10:11], v[12:13], off
.LBB21_35:
	s_or_b64 exec, exec, s[2:3]
	s_waitcnt lgkmcnt(1)
	ds_bpermute_b32 v0, v8, v1
	ds_bpermute_b32 v1, v8, v3
	s_waitcnt lgkmcnt(2)
	v_or_b32_e32 v2, 3, v7
	v_cmp_lt_i32_e64 s[0:1], v2, v16
	s_and_b64 s[0:1], vcc, s[0:1]
	s_and_b64 exec, exec, s[0:1]
	s_cbranch_execz .LBB21_37
; %bb.36:
	v_mad_u64_u32 v[2:3], s[0:1], v2, s4, v[4:5]
	v_ashrrev_i32_e32 v3, 31, v2
	v_lshlrev_b64 v[2:3], 3, v[2:3]
	v_add_co_u32_e32 v2, vcc, v5, v2
	v_addc_co_u32_e32 v3, vcc, v6, v3, vcc
	global_load_dwordx2 v[4:5], v[2:3], off
	s_waitcnt lgkmcnt(0)
	v_mul_f32_e32 v6, s29, v1
	v_mul_f32_e32 v1, s28, v1
	v_fma_f32 v6, s28, v0, -v6
	v_fmac_f32_e32 v1, s29, v0
	s_waitcnt vmcnt(0)
	v_mul_f32_e32 v0, s23, v5
	v_mul_f32_e32 v5, s22, v5
	v_fma_f32 v0, s22, v4, -v0
	v_fmac_f32_e32 v5, s23, v4
	v_add_f32_e32 v0, v6, v0
	v_add_f32_e32 v1, v1, v5
	global_store_dwordx2 v[2:3], v[0:1], off
.LBB21_37:
	s_endpgm
	.section	.rodata,"a",@progbits
	.p2align	6, 0x0
	.amdhsa_kernel _ZN9rocsolver6v33100L16mfma_gemm_kernelI19rocblas_complex_numIfEiPKS3_PKPS3_S6_S6_EEv18rocblas_operation_S9_T0_SA_SA_T1_T2_lSA_SA_lT3_lSA_SA_lSB_T4_lSA_SA_l
		.amdhsa_group_segment_fixed_size 20480
		.amdhsa_private_segment_fixed_size 0
		.amdhsa_kernarg_size 392
		.amdhsa_user_sgpr_count 8
		.amdhsa_user_sgpr_private_segment_buffer 1
		.amdhsa_user_sgpr_dispatch_ptr 1
		.amdhsa_user_sgpr_queue_ptr 0
		.amdhsa_user_sgpr_kernarg_segment_ptr 1
		.amdhsa_user_sgpr_dispatch_id 0
		.amdhsa_user_sgpr_flat_scratch_init 0
		.amdhsa_user_sgpr_kernarg_preload_length 0
		.amdhsa_user_sgpr_kernarg_preload_offset 0
		.amdhsa_user_sgpr_private_segment_size 0
		.amdhsa_uses_dynamic_stack 0
		.amdhsa_system_sgpr_private_segment_wavefront_offset 0
		.amdhsa_system_sgpr_workgroup_id_x 1
		.amdhsa_system_sgpr_workgroup_id_y 1
		.amdhsa_system_sgpr_workgroup_id_z 1
		.amdhsa_system_sgpr_workgroup_info 0
		.amdhsa_system_vgpr_workitem_id 2
		.amdhsa_next_free_vgpr 50
		.amdhsa_next_free_sgpr 40
		.amdhsa_accum_offset 52
		.amdhsa_reserve_vcc 1
		.amdhsa_reserve_flat_scratch 0
		.amdhsa_float_round_mode_32 0
		.amdhsa_float_round_mode_16_64 0
		.amdhsa_float_denorm_mode_32 3
		.amdhsa_float_denorm_mode_16_64 3
		.amdhsa_dx10_clamp 1
		.amdhsa_ieee_mode 1
		.amdhsa_fp16_overflow 0
		.amdhsa_tg_split 0
		.amdhsa_exception_fp_ieee_invalid_op 0
		.amdhsa_exception_fp_denorm_src 0
		.amdhsa_exception_fp_ieee_div_zero 0
		.amdhsa_exception_fp_ieee_overflow 0
		.amdhsa_exception_fp_ieee_underflow 0
		.amdhsa_exception_fp_ieee_inexact 0
		.amdhsa_exception_int_div_zero 0
	.end_amdhsa_kernel
	.section	.text._ZN9rocsolver6v33100L16mfma_gemm_kernelI19rocblas_complex_numIfEiPKS3_PKPS3_S6_S6_EEv18rocblas_operation_S9_T0_SA_SA_T1_T2_lSA_SA_lT3_lSA_SA_lSB_T4_lSA_SA_l,"axG",@progbits,_ZN9rocsolver6v33100L16mfma_gemm_kernelI19rocblas_complex_numIfEiPKS3_PKPS3_S6_S6_EEv18rocblas_operation_S9_T0_SA_SA_T1_T2_lSA_SA_lT3_lSA_SA_lSB_T4_lSA_SA_l,comdat
.Lfunc_end21:
	.size	_ZN9rocsolver6v33100L16mfma_gemm_kernelI19rocblas_complex_numIfEiPKS3_PKPS3_S6_S6_EEv18rocblas_operation_S9_T0_SA_SA_T1_T2_lSA_SA_lT3_lSA_SA_lSB_T4_lSA_SA_l, .Lfunc_end21-_ZN9rocsolver6v33100L16mfma_gemm_kernelI19rocblas_complex_numIfEiPKS3_PKPS3_S6_S6_EEv18rocblas_operation_S9_T0_SA_SA_T1_T2_lSA_SA_lT3_lSA_SA_lSB_T4_lSA_SA_l
                                        ; -- End function
	.section	.AMDGPU.csdata,"",@progbits
; Kernel info:
; codeLenInByte = 2156
; NumSgprs: 44
; NumVgprs: 50
; NumAgprs: 0
; TotalNumVgprs: 50
; ScratchSize: 0
; MemoryBound: 0
; FloatMode: 240
; IeeeMode: 1
; LDSByteSize: 20480 bytes/workgroup (compile time only)
; SGPRBlocks: 5
; VGPRBlocks: 6
; NumSGPRsForWavesPerEU: 44
; NumVGPRsForWavesPerEU: 50
; AccumOffset: 52
; Occupancy: 8
; WaveLimiterHint : 1
; COMPUTE_PGM_RSRC2:SCRATCH_EN: 0
; COMPUTE_PGM_RSRC2:USER_SGPR: 8
; COMPUTE_PGM_RSRC2:TRAP_HANDLER: 0
; COMPUTE_PGM_RSRC2:TGID_X_EN: 1
; COMPUTE_PGM_RSRC2:TGID_Y_EN: 1
; COMPUTE_PGM_RSRC2:TGID_Z_EN: 1
; COMPUTE_PGM_RSRC2:TIDIG_COMP_CNT: 2
; COMPUTE_PGM_RSRC3_GFX90A:ACCUM_OFFSET: 12
; COMPUTE_PGM_RSRC3_GFX90A:TG_SPLIT: 0
	.section	.text._ZN9rocsolver6v33100L16mfma_gemm_kernelI19rocblas_complex_numIfEiS3_PKPS3_S4_S4_EEv18rocblas_operation_S7_T0_S8_S8_T1_T2_lS8_S8_lT3_lS8_S8_lS9_T4_lS8_S8_l,"axG",@progbits,_ZN9rocsolver6v33100L16mfma_gemm_kernelI19rocblas_complex_numIfEiS3_PKPS3_S4_S4_EEv18rocblas_operation_S7_T0_S8_S8_T1_T2_lS8_S8_lT3_lS8_S8_lS9_T4_lS8_S8_l,comdat
	.globl	_ZN9rocsolver6v33100L16mfma_gemm_kernelI19rocblas_complex_numIfEiS3_PKPS3_S4_S4_EEv18rocblas_operation_S7_T0_S8_S8_T1_T2_lS8_S8_lT3_lS8_S8_lS9_T4_lS8_S8_l ; -- Begin function _ZN9rocsolver6v33100L16mfma_gemm_kernelI19rocblas_complex_numIfEiS3_PKPS3_S4_S4_EEv18rocblas_operation_S7_T0_S8_S8_T1_T2_lS8_S8_lT3_lS8_S8_lS9_T4_lS8_S8_l
	.p2align	8
	.type	_ZN9rocsolver6v33100L16mfma_gemm_kernelI19rocblas_complex_numIfEiS3_PKPS3_S4_S4_EEv18rocblas_operation_S7_T0_S8_S8_T1_T2_lS8_S8_lT3_lS8_S8_lS9_T4_lS8_S8_l,@function
_ZN9rocsolver6v33100L16mfma_gemm_kernelI19rocblas_complex_numIfEiS3_PKPS3_S4_S4_EEv18rocblas_operation_S7_T0_S8_S8_T1_T2_lS8_S8_lT3_lS8_S8_lS9_T4_lS8_S8_l: ; @_ZN9rocsolver6v33100L16mfma_gemm_kernelI19rocblas_complex_numIfEiS3_PKPS3_S4_S4_EEv18rocblas_operation_S7_T0_S8_S8_T1_T2_lS8_S8_lT3_lS8_S8_lS9_T4_lS8_S8_l
; %bb.0:
	s_load_dword s0, s[6:7], 0x94
	s_load_dwordx4 s[24:27], s[6:7], 0x0
	v_and_b32_e32 v17, 0x3ff, v0
	v_bfe_u32 v1, v0, 10, 10
	v_lshrrev_b32_e32 v2, 6, v17
	s_waitcnt lgkmcnt(0)
	s_lshr_b32 s1, s0, 16
	s_bfe_u32 s0, s0, 0xa0006
	s_mul_i32 s8, s8, s0
	s_mul_i32 s9, s9, s1
	v_add_lshl_u32 v18, s8, v2, 4
	v_add_u32_e32 v2, s9, v1
	v_lshlrev_b32_e32 v19, 4, v2
	v_cmp_gt_i32_e32 vcc, s26, v18
	v_cmp_gt_i32_e64 s[0:1], s27, v19
	s_and_b64 s[0:1], vcc, s[0:1]
	s_and_saveexec_b64 s[2:3], s[0:1]
	s_cbranch_execz .LBB22_37
; %bb.1:
	s_load_dwordx2 s[0:1], s[4:5], 0x4
	v_bfe_u32 v0, v0, 20, 10
	s_load_dwordx4 s[20:23], s[6:7], 0x10
	s_load_dwordx2 s[28:29], s[6:7], 0x60
	s_ashr_i32 s11, s10, 31
	v_bfe_u32 v21, v17, 2, 4
	s_waitcnt lgkmcnt(0)
	s_lshr_b32 s0, s0, 16
	s_mul_i32 s0, s0, s1
	v_mul_lo_u32 v2, s0, v17
	s_ashr_i32 s0, s26, 31
	s_lshr_b32 s0, s0, 28
	s_add_i32 s0, s26, s0
	s_and_b32 s0, s0, -16
	v_mul_u32_u24_e32 v1, s1, v1
	s_sub_i32 s0, s26, s0
	v_add3_u32 v0, v2, v1, v0
	v_mov_b32_e32 v1, s0
	s_ashr_i32 s0, s27, 31
	s_lshr_b32 s0, s0, 28
	s_add_i32 s0, s27, s0
	v_mul_lo_u32 v24, v0, 20
	v_add_u32_e32 v0, 16, v18
	s_and_b32 s0, s0, -16
	v_cmp_lt_i32_e32 vcc, s26, v0
	v_add_u32_e32 v0, 16, v19
	s_sub_i32 s0, s27, s0
	v_cndmask_b32_e32 v16, 16, v1, vcc
	v_mov_b32_e32 v1, s0
	v_cmp_lt_i32_e32 vcc, s27, v0
	v_cndmask_b32_e32 v20, 16, v1, vcc
	v_and_b32_e32 v22, 3, v17
	s_cmp_lt_i32 s20, 1
	v_mov_b32_e32 v1, 0
	s_mov_b32 s23, 0
	v_cmp_lt_i32_e64 s[0:1], v21, v20
	v_mbcnt_lo_u32_b32 v23, -1, 0
	v_mov_b32_e32 v2, 0
	v_mov_b32_e32 v13, 0
	;; [unrolled: 1-line block ×7, first 2 shown]
	ds_write2_b32 v24, v1, v1 offset0:2 offset1:3
	ds_write2_b32 v24, v1, v1 offset1:1
	ds_write_b32 v24, v1 offset:16
	s_cbranch_scc1 .LBB22_29
; %bb.2:
	s_load_dwordx4 s[36:39], s[6:7], 0x20
	s_load_dwordx2 s[26:27], s[6:7], 0x30
	s_load_dwordx8 s[12:19], s[6:7], 0x40
	s_lshl_b64 s[2:3], s[10:11], 3
	v_and_b32_e32 v2, 63, v17
	s_waitcnt lgkmcnt(0)
	s_add_u32 s2, s36, s2
	s_addc_u32 s3, s37, s3
	s_load_dwordx2 s[2:3], s[2:3], 0x0
	s_lshl_b64 s[4:5], s[38:39], 3
	s_mul_i32 s8, s10, s19
	s_mul_hi_u32 s9, s10, s18
	v_lshrrev_b32_e32 v29, 4, v2
	s_waitcnt lgkmcnt(0)
	s_add_u32 s4, s2, s4
	s_addc_u32 s5, s3, s5
	s_add_i32 s2, s9, s8
	s_mul_i32 s3, s11, s18
	s_add_i32 s3, s2, s3
	s_mul_i32 s2, s10, s18
	s_lshl_b64 s[2:3], s[2:3], 3
	s_add_u32 s8, s12, s2
	s_addc_u32 s9, s13, s3
	s_lshl_b64 s[2:3], s[14:15], 3
	s_add_u32 s2, s8, s2
	s_addc_u32 s3, s9, s3
	s_cmpk_lg_i32 s24, 0x6f
	s_cselect_b64 s[12:13], -1, 0
	s_cmpk_eq_i32 s24, 0x6f
	s_cselect_b32 s8, s26, s27
	v_mul_lo_u32 v0, v18, s8
	v_ashrrev_i32_e32 v1, 31, v0
	s_cmpk_lg_i32 s25, 0x6f
	v_lshlrev_b64 v[0:1], 3, v[0:1]
	s_cselect_b64 s[14:15], -1, 0
	s_cmpk_eq_i32 s25, 0x6f
	v_add_co_u32_e32 v25, vcc, s4, v0
	s_cselect_b32 s4, s17, s16
	v_mov_b32_e32 v3, s5
	v_mul_lo_u32 v0, v19, s4
	v_addc_co_u32_e32 v26, vcc, v3, v1, vcc
	v_ashrrev_i32_e32 v1, 31, v0
	v_lshlrev_b64 v[0:1], 3, v[0:1]
	v_mov_b32_e32 v3, s3
	v_add_co_u32_e32 v27, vcc, s2, v0
	v_addc_co_u32_e32 v28, vcc, v3, v1, vcc
	v_and_b32_e32 v1, 15, v17
	v_mul_lo_u32 v0, v1, s26
	s_cmpk_eq_i32 s24, 0x71
	v_mad_u64_u32 v[4:5], s[30:31], s27, v29, v[0:1]
	v_mul_lo_u32 v0, s26, v22
	s_cselect_b64 s[18:19], -1, 0
	s_cmpk_eq_i32 s25, 0x71
	v_mad_u64_u32 v[6:7], s[34:35], v21, s27, v[0:1]
	v_mul_lo_u32 v0, s16, v22
	v_lshl_or_b32 v3, v1, 2, v29
	v_cmp_lt_i32_e64 s[4:5], v1, v16
	v_cmp_lt_i32_e64 s[8:9], v1, v20
	v_mul_lo_u32 v2, v1, s16
	s_cselect_b64 s[24:25], -1, 0
	s_lshl_b32 s30, s27, 2
	s_lshl_b32 s31, s26, 2
	v_mad_u64_u32 v[8:9], s[26:27], v21, s17, v[0:1]
	v_mbcnt_hi_u32_b32 v1, -1, v23
	v_mov_b32_e32 v0, 0
	v_and_or_b32 v1, v1, 64, v3
	v_cmp_lt_i32_e64 s[2:3], v21, v16
	s_lshl_b32 s33, s16, 2
	v_mad_u64_u32 v[10:11], s[26:27], s17, v29, v[2:3]
	s_lshl_b32 s34, s17, 2
	v_lshlrev_b32_e32 v30, 2, v1
	v_mov_b32_e32 v3, v0
	v_mov_b32_e32 v2, v0
	;; [unrolled: 1-line block ×3, first 2 shown]
	s_branch .LBB22_6
.LBB22_3:                               ;   in Loop: Header=BB22_6 Depth=1
	s_or_b64 exec, exec, s[26:27]
.LBB22_4:                               ;   in Loop: Header=BB22_6 Depth=1
	s_or_b64 exec, exec, s[16:17]
	s_waitcnt vmcnt(0)
	ds_bpermute_b32 v14, v30, v14
	ds_bpermute_b32 v15, v30, v15
.LBB22_5:                               ;   in Loop: Header=BB22_6 Depth=1
	s_waitcnt vmcnt(0) lgkmcnt(0)
	v_cndmask_b32_e64 v7, v13, -v13, s[18:19]
	v_cndmask_b32_e64 v5, v15, -v15, s[24:25]
	v_mfma_f32_16x16x4f32 v[32:35], v12, v14, 0
	s_add_i32 s23, s23, 4
	v_add_u32_e32 v4, s30, v4
	v_add_u32_e32 v6, s31, v6
	v_add_u32_e32 v8, s33, v8
	s_cmp_ge_i32 s23, s20
	v_add_u32_e32 v10, s34, v10
	v_mfma_f32_16x16x4f32 v[40:43], v7, v5, 0
	v_mfma_f32_16x16x4f32 v[36:39], v12, v5, 0
	ds_read2_b32 v[12:13], v24 offset1:1
	ds_read2_b32 v[44:45], v24 offset0:3 offset1:4
	ds_read2_b32 v[46:47], v24 offset0:2 offset1:3
	;; [unrolled: 1-line block ×3, first 2 shown]
	s_nop 5
	v_sub_f32_e32 v35, v35, v43
	v_sub_f32_e32 v34, v34, v42
	;; [unrolled: 1-line block ×4, first 2 shown]
	s_waitcnt lgkmcnt(1)
	v_mov_b32_e32 v13, v46
	v_pk_add_f32 v[12:13], v[12:13], v[32:33]
	v_pk_add_f32 v[0:1], v[0:1], v[34:35]
	v_mfma_f32_16x16x4f32 v[32:35], v7, v14, 0
	s_waitcnt lgkmcnt(0)
	v_mov_b32_e32 v49, v44
	s_nop 7
	s_nop 0
	v_pk_add_f32 v[14:15], v[38:39], v[34:35]
	v_pk_add_f32 v[32:33], v[36:37], v[32:33]
	;; [unrolled: 1-line block ×4, first 2 shown]
	ds_write2_b32 v24, v12, v14 offset1:1
	v_mov_b32_e32 v12, v13
	v_mov_b32_e32 v5, v15
	ds_write2_b32 v24, v13, v15 offset0:2 offset1:3
	ds_write_b32 v24, v0 offset:16
	s_cbranch_scc1 .LBB22_28
.LBB22_6:                               ; =>This Inner Loop Header: Depth=1
	s_and_b64 vcc, exec, s[12:13]
	s_cbranch_vccz .LBB22_18
; %bb.7:                                ;   in Loop: Header=BB22_6 Depth=1
	v_mov_b32_e32 v12, 0
	v_mov_b32_e32 v13, 0
	s_and_saveexec_b64 s[16:17], s[2:3]
	s_cbranch_execz .LBB22_11
; %bb.8:                                ;   in Loop: Header=BB22_6 Depth=1
	v_add_u32_e32 v5, s23, v22
	v_cmp_gt_i32_e32 vcc, s20, v5
	v_mov_b32_e32 v13, 0
	v_mov_b32_e32 v12, 0
	s_and_saveexec_b64 s[26:27], vcc
	s_cbranch_execz .LBB22_10
; %bb.9:                                ;   in Loop: Header=BB22_6 Depth=1
	v_ashrrev_i32_e32 v7, 31, v6
	v_lshlrev_b64 v[12:13], 3, v[6:7]
	v_add_co_u32_e32 v12, vcc, v25, v12
	v_addc_co_u32_e32 v13, vcc, v26, v13, vcc
	global_load_dwordx2 v[12:13], v[12:13], off
.LBB22_10:                              ;   in Loop: Header=BB22_6 Depth=1
	s_or_b64 exec, exec, s[26:27]
.LBB22_11:                              ;   in Loop: Header=BB22_6 Depth=1
	s_or_b64 exec, exec, s[16:17]
	s_waitcnt vmcnt(0)
	ds_bpermute_b32 v12, v30, v12
	ds_bpermute_b32 v13, v30, v13
.LBB22_12:                              ;   in Loop: Header=BB22_6 Depth=1
	s_and_b64 vcc, exec, s[14:15]
	s_cbranch_vccz .LBB22_24
.LBB22_13:                              ;   in Loop: Header=BB22_6 Depth=1
	v_mov_b32_e32 v15, 0
	v_mov_b32_e32 v14, 0
	s_and_saveexec_b64 s[16:17], s[8:9]
	s_cbranch_execz .LBB22_17
; %bb.14:                               ;   in Loop: Header=BB22_6 Depth=1
	v_add_u32_e32 v5, s23, v29
	v_cmp_gt_i32_e32 vcc, s20, v5
	v_mov_b32_e32 v15, 0
	v_mov_b32_e32 v14, 0
	s_and_saveexec_b64 s[26:27], vcc
	s_cbranch_execz .LBB22_16
; %bb.15:                               ;   in Loop: Header=BB22_6 Depth=1
	v_ashrrev_i32_e32 v11, 31, v10
	v_lshlrev_b64 v[14:15], 3, v[10:11]
	v_add_co_u32_e32 v14, vcc, v27, v14
	v_addc_co_u32_e32 v15, vcc, v28, v15, vcc
	global_load_dwordx2 v[14:15], v[14:15], off
.LBB22_16:                              ;   in Loop: Header=BB22_6 Depth=1
	s_or_b64 exec, exec, s[26:27]
.LBB22_17:                              ;   in Loop: Header=BB22_6 Depth=1
	s_or_b64 exec, exec, s[16:17]
	s_cbranch_execnz .LBB22_5
	s_branch .LBB22_25
.LBB22_18:                              ;   in Loop: Header=BB22_6 Depth=1
                                        ; implicit-def: $vgpr13
	s_cbranch_execz .LBB22_12
; %bb.19:                               ;   in Loop: Header=BB22_6 Depth=1
	s_waitcnt lgkmcnt(0)
	v_mov_b32_e32 v13, 0
	v_mov_b32_e32 v12, 0
	s_and_saveexec_b64 s[16:17], s[4:5]
	s_cbranch_execz .LBB22_23
; %bb.20:                               ;   in Loop: Header=BB22_6 Depth=1
	v_add_u32_e32 v5, s23, v29
	v_cmp_gt_i32_e32 vcc, s20, v5
	v_mov_b32_e32 v13, 0
	v_mov_b32_e32 v12, 0
	s_and_saveexec_b64 s[26:27], vcc
	s_cbranch_execz .LBB22_22
; %bb.21:                               ;   in Loop: Header=BB22_6 Depth=1
	v_ashrrev_i32_e32 v5, 31, v4
	v_lshlrev_b64 v[12:13], 3, v[4:5]
	v_add_co_u32_e32 v12, vcc, v25, v12
	v_addc_co_u32_e32 v13, vcc, v26, v13, vcc
	global_load_dwordx2 v[12:13], v[12:13], off
.LBB22_22:                              ;   in Loop: Header=BB22_6 Depth=1
	s_or_b64 exec, exec, s[26:27]
.LBB22_23:                              ;   in Loop: Header=BB22_6 Depth=1
	s_or_b64 exec, exec, s[16:17]
	s_and_b64 vcc, exec, s[14:15]
	s_cbranch_vccnz .LBB22_13
.LBB22_24:                              ;   in Loop: Header=BB22_6 Depth=1
                                        ; implicit-def: $vgpr15
.LBB22_25:                              ;   in Loop: Header=BB22_6 Depth=1
	s_waitcnt vmcnt(0)
	v_mov_b32_e32 v14, 0
	v_mov_b32_e32 v15, 0
	s_and_saveexec_b64 s[16:17], s[0:1]
	s_cbranch_execz .LBB22_4
; %bb.26:                               ;   in Loop: Header=BB22_6 Depth=1
	v_add_u32_e32 v5, s23, v22
	v_cmp_gt_i32_e32 vcc, s20, v5
	v_mov_b32_e32 v15, 0
	v_mov_b32_e32 v14, 0
	s_and_saveexec_b64 s[26:27], vcc
	s_cbranch_execz .LBB22_3
; %bb.27:                               ;   in Loop: Header=BB22_6 Depth=1
	v_ashrrev_i32_e32 v9, 31, v8
	v_lshlrev_b64 v[14:15], 3, v[8:9]
	v_add_co_u32_e32 v14, vcc, v27, v14
	v_addc_co_u32_e32 v15, vcc, v28, v15, vcc
	global_load_dwordx2 v[14:15], v[14:15], off
	s_branch .LBB22_3
.LBB22_28:
	ds_read_b32 v4, v24
.LBB22_29:
	s_load_dwordx8 s[0:7], s[6:7], 0x68
	v_mbcnt_hi_u32_b32 v9, -1, v23
	v_and_b32_e32 v9, 64, v9
	s_waitcnt lgkmcnt(0)
	s_mul_i32 s7, s10, s7
	s_mul_hi_u32 s8, s10, s6
	s_mul_i32 s9, s11, s6
	s_add_i32 s7, s8, s7
	s_mul_i32 s6, s10, s6
	s_add_i32 s7, s7, s9
	s_lshl_b64 s[6:7], s[6:7], 3
	s_add_u32 s6, s0, s6
	s_addc_u32 s7, s1, s7
	s_lshl_b64 s[0:1], s[2:3], 3
	s_add_u32 s2, s6, s0
	v_mul_lo_u32 v6, v18, s4
	s_addc_u32 s3, s7, s1
	v_mad_u64_u32 v[6:7], s[0:1], v19, s5, v[6:7]
	v_ashrrev_i32_e32 v7, 31, v6
	v_lshlrev_b64 v[6:7], 3, v[6:7]
	v_mov_b32_e32 v8, s3
	v_add_co_u32_e32 v5, vcc, s2, v6
	v_addc_co_u32_e32 v6, vcc, v8, v7, vcc
	v_lshlrev_b32_e32 v8, 4, v17
	v_and_b32_e32 v8, 48, v8
	v_or3_b32 v8, v8, v9, v21
	v_lshlrev_b32_e32 v8, 2, v8
	ds_bpermute_b32 v9, v8, v4
	ds_bpermute_b32 v10, v8, v14
	v_lshlrev_b32_e32 v7, 2, v22
	v_cmp_lt_i32_e32 vcc, v21, v20
	v_cmp_lt_i32_e64 s[0:1], v7, v16
	v_mul_lo_u32 v4, v21, s5
	s_and_b64 s[0:1], vcc, s[0:1]
	s_and_saveexec_b64 s[2:3], s[0:1]
	s_cbranch_execz .LBB22_31
; %bb.30:
	v_mad_u64_u32 v[18:19], s[0:1], v7, s4, v[4:5]
	v_ashrrev_i32_e32 v19, 31, v18
	v_lshlrev_b64 v[18:19], 3, v[18:19]
	v_add_co_u32_e64 v18, s[0:1], v5, v18
	v_addc_co_u32_e64 v19, s[0:1], v6, v19, s[0:1]
	global_load_dwordx2 v[20:21], v[18:19], off
	s_waitcnt lgkmcnt(0)
	v_mul_f32_e32 v11, s22, v10
	v_mul_f32_e32 v12, s22, v9
	v_fma_f32 v9, s21, v9, -v11
	v_fmac_f32_e32 v12, s21, v10
	s_waitcnt vmcnt(0)
	v_mul_f32_e32 v10, s29, v21
	v_mul_f32_e32 v11, s28, v21
	v_fma_f32 v10, s28, v20, -v10
	v_fmac_f32_e32 v11, s29, v20
	v_add_f32_e32 v10, v9, v10
	v_add_f32_e32 v11, v12, v11
	global_store_dwordx2 v[18:19], v[10:11], off
.LBB22_31:
	s_or_b64 exec, exec, s[2:3]
	s_waitcnt lgkmcnt(1)
	ds_bpermute_b32 v9, v8, v13
	s_waitcnt lgkmcnt(1)
	ds_bpermute_b32 v10, v8, v15
	v_or_b32_e32 v11, 1, v7
	v_cmp_lt_i32_e64 s[0:1], v11, v16
	s_and_b64 s[0:1], vcc, s[0:1]
	s_and_saveexec_b64 s[2:3], s[0:1]
	s_cbranch_execz .LBB22_33
; %bb.32:
	v_mad_u64_u32 v[12:13], s[0:1], v11, s4, v[4:5]
	v_ashrrev_i32_e32 v13, 31, v12
	v_lshlrev_b64 v[12:13], 3, v[12:13]
	v_add_co_u32_e64 v12, s[0:1], v5, v12
	v_addc_co_u32_e64 v13, s[0:1], v6, v13, s[0:1]
	global_load_dwordx2 v[14:15], v[12:13], off
	s_waitcnt lgkmcnt(0)
	v_mul_f32_e32 v11, s22, v10
	v_mul_f32_e32 v17, s21, v10
	v_fma_f32 v10, s21, v9, -v11
	v_fmac_f32_e32 v17, s22, v9
	s_waitcnt vmcnt(0)
	v_mul_f32_e32 v9, s29, v15
	v_mul_f32_e32 v11, s28, v15
	v_fma_f32 v9, s28, v14, -v9
	v_fmac_f32_e32 v11, s29, v14
	v_add_f32_e32 v10, v10, v9
	v_add_f32_e32 v11, v17, v11
	global_store_dwordx2 v[12:13], v[10:11], off
.LBB22_33:
	s_or_b64 exec, exec, s[2:3]
	ds_bpermute_b32 v0, v8, v0
	ds_bpermute_b32 v2, v8, v2
	s_waitcnt lgkmcnt(3)
	v_or_b32_e32 v9, 2, v7
	v_cmp_lt_i32_e64 s[0:1], v9, v16
	s_and_b64 s[0:1], vcc, s[0:1]
	s_and_saveexec_b64 s[2:3], s[0:1]
	s_cbranch_execz .LBB22_35
; %bb.34:
	s_waitcnt lgkmcnt(2)
	v_mad_u64_u32 v[10:11], s[0:1], v9, s4, v[4:5]
	v_ashrrev_i32_e32 v11, 31, v10
	v_lshlrev_b64 v[10:11], 3, v[10:11]
	v_add_co_u32_e64 v10, s[0:1], v5, v10
	v_addc_co_u32_e64 v11, s[0:1], v6, v11, s[0:1]
	global_load_dwordx2 v[12:13], v[10:11], off
	s_waitcnt lgkmcnt(0)
	v_mul_f32_e32 v9, s22, v2
	v_mul_f32_e32 v2, s21, v2
	v_fma_f32 v9, s21, v0, -v9
	v_fmac_f32_e32 v2, s22, v0
	s_waitcnt vmcnt(0)
	v_mul_f32_e32 v0, s29, v13
	v_mul_f32_e32 v13, s28, v13
	v_fma_f32 v0, s28, v12, -v0
	v_fmac_f32_e32 v13, s29, v12
	v_add_f32_e32 v12, v9, v0
	v_add_f32_e32 v13, v2, v13
	global_store_dwordx2 v[10:11], v[12:13], off
.LBB22_35:
	s_or_b64 exec, exec, s[2:3]
	s_waitcnt lgkmcnt(1)
	ds_bpermute_b32 v0, v8, v1
	ds_bpermute_b32 v1, v8, v3
	s_waitcnt lgkmcnt(2)
	v_or_b32_e32 v2, 3, v7
	v_cmp_lt_i32_e64 s[0:1], v2, v16
	s_and_b64 s[0:1], vcc, s[0:1]
	s_and_b64 exec, exec, s[0:1]
	s_cbranch_execz .LBB22_37
; %bb.36:
	v_mad_u64_u32 v[2:3], s[0:1], v2, s4, v[4:5]
	v_ashrrev_i32_e32 v3, 31, v2
	v_lshlrev_b64 v[2:3], 3, v[2:3]
	v_add_co_u32_e32 v2, vcc, v5, v2
	v_addc_co_u32_e32 v3, vcc, v6, v3, vcc
	global_load_dwordx2 v[4:5], v[2:3], off
	s_waitcnt lgkmcnt(0)
	v_mul_f32_e32 v6, s22, v1
	v_mul_f32_e32 v1, s21, v1
	v_fma_f32 v6, s21, v0, -v6
	v_fmac_f32_e32 v1, s22, v0
	s_waitcnt vmcnt(0)
	v_mul_f32_e32 v0, s29, v5
	v_mul_f32_e32 v5, s28, v5
	v_fma_f32 v0, s28, v4, -v0
	v_fmac_f32_e32 v5, s29, v4
	v_add_f32_e32 v0, v6, v0
	v_add_f32_e32 v1, v1, v5
	global_store_dwordx2 v[2:3], v[0:1], off
.LBB22_37:
	s_endpgm
	.section	.rodata,"a",@progbits
	.p2align	6, 0x0
	.amdhsa_kernel _ZN9rocsolver6v33100L16mfma_gemm_kernelI19rocblas_complex_numIfEiS3_PKPS3_S4_S4_EEv18rocblas_operation_S7_T0_S8_S8_T1_T2_lS8_S8_lT3_lS8_S8_lS9_T4_lS8_S8_l
		.amdhsa_group_segment_fixed_size 20480
		.amdhsa_private_segment_fixed_size 0
		.amdhsa_kernarg_size 392
		.amdhsa_user_sgpr_count 8
		.amdhsa_user_sgpr_private_segment_buffer 1
		.amdhsa_user_sgpr_dispatch_ptr 1
		.amdhsa_user_sgpr_queue_ptr 0
		.amdhsa_user_sgpr_kernarg_segment_ptr 1
		.amdhsa_user_sgpr_dispatch_id 0
		.amdhsa_user_sgpr_flat_scratch_init 0
		.amdhsa_user_sgpr_kernarg_preload_length 0
		.amdhsa_user_sgpr_kernarg_preload_offset 0
		.amdhsa_user_sgpr_private_segment_size 0
		.amdhsa_uses_dynamic_stack 0
		.amdhsa_system_sgpr_private_segment_wavefront_offset 0
		.amdhsa_system_sgpr_workgroup_id_x 1
		.amdhsa_system_sgpr_workgroup_id_y 1
		.amdhsa_system_sgpr_workgroup_id_z 1
		.amdhsa_system_sgpr_workgroup_info 0
		.amdhsa_system_vgpr_workitem_id 2
		.amdhsa_next_free_vgpr 50
		.amdhsa_next_free_sgpr 40
		.amdhsa_accum_offset 52
		.amdhsa_reserve_vcc 1
		.amdhsa_reserve_flat_scratch 0
		.amdhsa_float_round_mode_32 0
		.amdhsa_float_round_mode_16_64 0
		.amdhsa_float_denorm_mode_32 3
		.amdhsa_float_denorm_mode_16_64 3
		.amdhsa_dx10_clamp 1
		.amdhsa_ieee_mode 1
		.amdhsa_fp16_overflow 0
		.amdhsa_tg_split 0
		.amdhsa_exception_fp_ieee_invalid_op 0
		.amdhsa_exception_fp_denorm_src 0
		.amdhsa_exception_fp_ieee_div_zero 0
		.amdhsa_exception_fp_ieee_overflow 0
		.amdhsa_exception_fp_ieee_underflow 0
		.amdhsa_exception_fp_ieee_inexact 0
		.amdhsa_exception_int_div_zero 0
	.end_amdhsa_kernel
	.section	.text._ZN9rocsolver6v33100L16mfma_gemm_kernelI19rocblas_complex_numIfEiS3_PKPS3_S4_S4_EEv18rocblas_operation_S7_T0_S8_S8_T1_T2_lS8_S8_lT3_lS8_S8_lS9_T4_lS8_S8_l,"axG",@progbits,_ZN9rocsolver6v33100L16mfma_gemm_kernelI19rocblas_complex_numIfEiS3_PKPS3_S4_S4_EEv18rocblas_operation_S7_T0_S8_S8_T1_T2_lS8_S8_lT3_lS8_S8_lS9_T4_lS8_S8_l,comdat
.Lfunc_end22:
	.size	_ZN9rocsolver6v33100L16mfma_gemm_kernelI19rocblas_complex_numIfEiS3_PKPS3_S4_S4_EEv18rocblas_operation_S7_T0_S8_S8_T1_T2_lS8_S8_lT3_lS8_S8_lS9_T4_lS8_S8_l, .Lfunc_end22-_ZN9rocsolver6v33100L16mfma_gemm_kernelI19rocblas_complex_numIfEiS3_PKPS3_S4_S4_EEv18rocblas_operation_S7_T0_S8_S8_T1_T2_lS8_S8_lT3_lS8_S8_lS9_T4_lS8_S8_l
                                        ; -- End function
	.section	.AMDGPU.csdata,"",@progbits
; Kernel info:
; codeLenInByte = 2136
; NumSgprs: 44
; NumVgprs: 50
; NumAgprs: 0
; TotalNumVgprs: 50
; ScratchSize: 0
; MemoryBound: 0
; FloatMode: 240
; IeeeMode: 1
; LDSByteSize: 20480 bytes/workgroup (compile time only)
; SGPRBlocks: 5
; VGPRBlocks: 6
; NumSGPRsForWavesPerEU: 44
; NumVGPRsForWavesPerEU: 50
; AccumOffset: 52
; Occupancy: 8
; WaveLimiterHint : 1
; COMPUTE_PGM_RSRC2:SCRATCH_EN: 0
; COMPUTE_PGM_RSRC2:USER_SGPR: 8
; COMPUTE_PGM_RSRC2:TRAP_HANDLER: 0
; COMPUTE_PGM_RSRC2:TGID_X_EN: 1
; COMPUTE_PGM_RSRC2:TGID_Y_EN: 1
; COMPUTE_PGM_RSRC2:TGID_Z_EN: 1
; COMPUTE_PGM_RSRC2:TIDIG_COMP_CNT: 2
; COMPUTE_PGM_RSRC3_GFX90A:ACCUM_OFFSET: 12
; COMPUTE_PGM_RSRC3_GFX90A:TG_SPLIT: 0
	.section	.text._ZN9rocsolver6v33100L11gemm_kernelI19rocblas_complex_numIfEiPKS3_PKPS3_S6_S6_EEvT0_S9_S9_T1_bT2_lS9_S9_lbT3_lS9_S9_lSA_T4_lS9_S9_l,"axG",@progbits,_ZN9rocsolver6v33100L11gemm_kernelI19rocblas_complex_numIfEiPKS3_PKPS3_S6_S6_EEvT0_S9_S9_T1_bT2_lS9_S9_lbT3_lS9_S9_lSA_T4_lS9_S9_l,comdat
	.globl	_ZN9rocsolver6v33100L11gemm_kernelI19rocblas_complex_numIfEiPKS3_PKPS3_S6_S6_EEvT0_S9_S9_T1_bT2_lS9_S9_lbT3_lS9_S9_lSA_T4_lS9_S9_l ; -- Begin function _ZN9rocsolver6v33100L11gemm_kernelI19rocblas_complex_numIfEiPKS3_PKPS3_S6_S6_EEvT0_S9_S9_T1_bT2_lS9_S9_lbT3_lS9_S9_lSA_T4_lS9_S9_l
	.p2align	8
	.type	_ZN9rocsolver6v33100L11gemm_kernelI19rocblas_complex_numIfEiPKS3_PKPS3_S6_S6_EEvT0_S9_S9_T1_bT2_lS9_S9_lbT3_lS9_S9_lSA_T4_lS9_S9_l,@function
_ZN9rocsolver6v33100L11gemm_kernelI19rocblas_complex_numIfEiPKS3_PKPS3_S6_S6_EEvT0_S9_S9_T1_bT2_lS9_S9_lbT3_lS9_S9_lSA_T4_lS9_S9_l: ; @_ZN9rocsolver6v33100L11gemm_kernelI19rocblas_complex_numIfEiPKS3_PKPS3_S6_S6_EEvT0_S9_S9_T1_bT2_lS9_S9_lbT3_lS9_S9_lSA_T4_lS9_S9_l
; %bb.0:
	s_load_dword s9, s[4:5], 0x9c
	s_load_dwordx4 s[0:3], s[4:5], 0x0
	v_and_b32_e32 v1, 0x3ff, v0
	v_bfe_u32 v0, v0, 10, 10
	s_waitcnt lgkmcnt(0)
	s_lshr_b32 s3, s9, 16
	s_and_b32 s9, s9, 0xffff
	s_mul_i32 s6, s6, s9
	s_mul_i32 s7, s7, s3
	v_add_u32_e32 v8, s6, v1
	v_add_u32_e32 v9, s7, v0
	v_cmp_gt_i32_e32 vcc, s0, v8
	v_cmp_gt_i32_e64 s[0:1], s1, v9
	s_and_b64 s[0:1], vcc, s[0:1]
	s_and_saveexec_b64 s[6:7], s[0:1]
	s_cbranch_execz .LBB23_9
; %bb.1:
	s_load_dwordx2 s[10:11], s[4:5], 0x10
	s_load_dwordx8 s[12:19], s[4:5], 0x60
	s_ashr_i32 s9, s8, 31
	s_cmp_lt_i32 s2, 1
	v_mov_b32_e32 v10, 0
	v_mov_b32_e32 v11, 0
	s_waitcnt lgkmcnt(0)
	s_load_dwordx2 s[6:7], s[10:11], 0x0
	s_load_dwordx2 s[0:1], s[14:15], 0x0
	s_cbranch_scc1 .LBB23_8
; %bb.2:
	s_load_dwordx4 s[24:27], s[4:5], 0x20
	s_load_dword s3, s[4:5], 0x18
	s_load_dwordx2 s[10:11], s[4:5], 0x30
	s_load_dword s20, s[4:5], 0x40
	s_lshl_b64 s[14:15], s[8:9], 3
	s_waitcnt lgkmcnt(0)
	s_add_u32 s14, s24, s14
	s_addc_u32 s15, s25, s15
	s_load_dwordx2 s[24:25], s[14:15], 0x0
	s_bitcmp1_b32 s3, 0
	s_cselect_b64 s[14:15], -1, 0
	s_xor_b64 s[14:15], s[14:15], -1
	s_bitcmp1_b32 s20, 0
	s_cselect_b64 s[20:21], -1, 0
	s_lshl_b64 s[26:27], s[26:27], 3
	s_load_dwordx4 s[28:31], s[4:5], 0x48
	s_load_dwordx2 s[22:23], s[4:5], 0x58
	s_waitcnt lgkmcnt(0)
	s_add_u32 s3, s24, s26
	s_mul_i32 s13, s8, s13
	s_mul_hi_u32 s24, s8, s12
	s_addc_u32 s25, s25, s27
	s_add_i32 s13, s24, s13
	s_mul_i32 s24, s9, s12
	s_add_i32 s13, s13, s24
	s_mul_i32 s12, s8, s12
	s_lshl_b64 s[12:13], s[12:13], 3
	s_add_u32 s24, s28, s12
	s_addc_u32 s26, s29, s13
	s_lshl_b64 s[12:13], s[30:31], 3
	s_add_u32 s24, s24, s12
	s_addc_u32 s12, s26, s13
	v_mul_lo_u32 v0, v8, s10
	v_mul_lo_u32 v2, v9, s23
	v_mov_b32_e32 v10, 0
	v_mov_b32_e32 v12, s25
	;; [unrolled: 1-line block ×4, first 2 shown]
	s_branch .LBB23_4
.LBB23_3:                               ;   in Loop: Header=BB23_4 Depth=1
	v_ashrrev_i32_e32 v3, 31, v2
	v_lshlrev_b64 v[6:7], 3, v[2:3]
	v_add_co_u32_e32 v6, vcc, s24, v6
	v_addc_co_u32_e32 v7, vcc, v13, v7, vcc
	global_load_dwordx2 v[6:7], v[6:7], off
	s_add_i32 s2, s2, -1
	v_add_u32_e32 v2, s22, v2
	s_cmp_eq_u32 s2, 0
	v_add_u32_e32 v0, s11, v0
	s_waitcnt vmcnt(0)
	v_cndmask_b32_e64 v1, v7, -v7, s[20:21]
	v_mul_f32_e32 v3, v6, v5
	v_mul_f32_e32 v5, v1, v5
	v_fmac_f32_e32 v3, v1, v4
	v_fma_f32 v1, v6, v4, -v5
	v_add_f32_e32 v10, v10, v3
	v_add_f32_e32 v11, v11, v1
	s_cbranch_scc1 .LBB23_8
.LBB23_4:                               ; =>This Inner Loop Header: Depth=1
	v_ashrrev_i32_e32 v1, 31, v0
	v_lshlrev_b64 v[4:5], 3, v[0:1]
	v_add_co_u32_e32 v6, vcc, s3, v4
	v_addc_co_u32_e32 v7, vcc, v12, v5, vcc
	s_and_b64 vcc, exec, s[14:15]
	s_cbranch_vccz .LBB23_6
; %bb.5:                                ;   in Loop: Header=BB23_4 Depth=1
	global_load_dwordx2 v[4:5], v[6:7], off
	s_cbranch_execnz .LBB23_3
	s_branch .LBB23_7
.LBB23_6:                               ;   in Loop: Header=BB23_4 Depth=1
                                        ; implicit-def: $vgpr5
.LBB23_7:                               ;   in Loop: Header=BB23_4 Depth=1
	global_load_dwordx2 v[4:5], v[6:7], off
	s_waitcnt vmcnt(0)
	v_xor_b32_e32 v5, 0x80000000, v5
	s_branch .LBB23_3
.LBB23_8:
	s_load_dwordx4 s[12:15], s[4:5], 0x80
	s_waitcnt lgkmcnt(0)
	v_mul_f32_e32 v4, s7, v10
	v_mul_f32_e32 v5, s6, v10
	v_fma_f32 v4, s6, v11, -v4
	v_fmac_f32_e32 v5, s7, v11
	s_mul_i32 s3, s8, s15
	s_mul_hi_u32 s4, s8, s14
	s_mul_i32 s5, s9, s14
	s_add_i32 s3, s4, s3
	s_mul_i32 s2, s8, s14
	s_add_i32 s3, s3, s5
	s_lshl_b64 s[2:3], s[2:3], 3
	s_add_u32 s4, s16, s2
	s_addc_u32 s5, s17, s3
	s_lshl_b64 s[2:3], s[18:19], 3
	s_add_u32 s4, s4, s2
	v_mul_lo_u32 v0, v8, s12
	s_addc_u32 s5, s5, s3
	v_mad_u64_u32 v[0:1], s[2:3], v9, s13, v[0:1]
	v_ashrrev_i32_e32 v1, 31, v0
	v_lshlrev_b64 v[0:1], 3, v[0:1]
	v_mov_b32_e32 v2, s5
	v_add_co_u32_e32 v0, vcc, s4, v0
	v_addc_co_u32_e32 v1, vcc, v2, v1, vcc
	global_load_dwordx2 v[2:3], v[0:1], off
	s_waitcnt vmcnt(0)
	v_mul_f32_e32 v6, s1, v3
	v_mul_f32_e32 v3, s0, v3
	v_fma_f32 v6, s0, v2, -v6
	v_fmac_f32_e32 v3, s1, v2
	v_add_f32_e32 v2, v4, v6
	v_add_f32_e32 v3, v5, v3
	global_store_dwordx2 v[0:1], v[2:3], off
.LBB23_9:
	s_endpgm
	.section	.rodata,"a",@progbits
	.p2align	6, 0x0
	.amdhsa_kernel _ZN9rocsolver6v33100L11gemm_kernelI19rocblas_complex_numIfEiPKS3_PKPS3_S6_S6_EEvT0_S9_S9_T1_bT2_lS9_S9_lbT3_lS9_S9_lSA_T4_lS9_S9_l
		.amdhsa_group_segment_fixed_size 0
		.amdhsa_private_segment_fixed_size 0
		.amdhsa_kernarg_size 400
		.amdhsa_user_sgpr_count 6
		.amdhsa_user_sgpr_private_segment_buffer 1
		.amdhsa_user_sgpr_dispatch_ptr 0
		.amdhsa_user_sgpr_queue_ptr 0
		.amdhsa_user_sgpr_kernarg_segment_ptr 1
		.amdhsa_user_sgpr_dispatch_id 0
		.amdhsa_user_sgpr_flat_scratch_init 0
		.amdhsa_user_sgpr_kernarg_preload_length 0
		.amdhsa_user_sgpr_kernarg_preload_offset 0
		.amdhsa_user_sgpr_private_segment_size 0
		.amdhsa_uses_dynamic_stack 0
		.amdhsa_system_sgpr_private_segment_wavefront_offset 0
		.amdhsa_system_sgpr_workgroup_id_x 1
		.amdhsa_system_sgpr_workgroup_id_y 1
		.amdhsa_system_sgpr_workgroup_id_z 1
		.amdhsa_system_sgpr_workgroup_info 0
		.amdhsa_system_vgpr_workitem_id 1
		.amdhsa_next_free_vgpr 14
		.amdhsa_next_free_sgpr 32
		.amdhsa_accum_offset 16
		.amdhsa_reserve_vcc 1
		.amdhsa_reserve_flat_scratch 0
		.amdhsa_float_round_mode_32 0
		.amdhsa_float_round_mode_16_64 0
		.amdhsa_float_denorm_mode_32 3
		.amdhsa_float_denorm_mode_16_64 3
		.amdhsa_dx10_clamp 1
		.amdhsa_ieee_mode 1
		.amdhsa_fp16_overflow 0
		.amdhsa_tg_split 0
		.amdhsa_exception_fp_ieee_invalid_op 0
		.amdhsa_exception_fp_denorm_src 0
		.amdhsa_exception_fp_ieee_div_zero 0
		.amdhsa_exception_fp_ieee_overflow 0
		.amdhsa_exception_fp_ieee_underflow 0
		.amdhsa_exception_fp_ieee_inexact 0
		.amdhsa_exception_int_div_zero 0
	.end_amdhsa_kernel
	.section	.text._ZN9rocsolver6v33100L11gemm_kernelI19rocblas_complex_numIfEiPKS3_PKPS3_S6_S6_EEvT0_S9_S9_T1_bT2_lS9_S9_lbT3_lS9_S9_lSA_T4_lS9_S9_l,"axG",@progbits,_ZN9rocsolver6v33100L11gemm_kernelI19rocblas_complex_numIfEiPKS3_PKPS3_S6_S6_EEvT0_S9_S9_T1_bT2_lS9_S9_lbT3_lS9_S9_lSA_T4_lS9_S9_l,comdat
.Lfunc_end23:
	.size	_ZN9rocsolver6v33100L11gemm_kernelI19rocblas_complex_numIfEiPKS3_PKPS3_S6_S6_EEvT0_S9_S9_T1_bT2_lS9_S9_lbT3_lS9_S9_lSA_T4_lS9_S9_l, .Lfunc_end23-_ZN9rocsolver6v33100L11gemm_kernelI19rocblas_complex_numIfEiPKS3_PKPS3_S6_S6_EEvT0_S9_S9_T1_bT2_lS9_S9_lbT3_lS9_S9_lSA_T4_lS9_S9_l
                                        ; -- End function
	.section	.AMDGPU.csdata,"",@progbits
; Kernel info:
; codeLenInByte = 664
; NumSgprs: 36
; NumVgprs: 14
; NumAgprs: 0
; TotalNumVgprs: 14
; ScratchSize: 0
; MemoryBound: 0
; FloatMode: 240
; IeeeMode: 1
; LDSByteSize: 0 bytes/workgroup (compile time only)
; SGPRBlocks: 4
; VGPRBlocks: 1
; NumSGPRsForWavesPerEU: 36
; NumVGPRsForWavesPerEU: 14
; AccumOffset: 16
; Occupancy: 8
; WaveLimiterHint : 1
; COMPUTE_PGM_RSRC2:SCRATCH_EN: 0
; COMPUTE_PGM_RSRC2:USER_SGPR: 6
; COMPUTE_PGM_RSRC2:TRAP_HANDLER: 0
; COMPUTE_PGM_RSRC2:TGID_X_EN: 1
; COMPUTE_PGM_RSRC2:TGID_Y_EN: 1
; COMPUTE_PGM_RSRC2:TGID_Z_EN: 1
; COMPUTE_PGM_RSRC2:TIDIG_COMP_CNT: 1
; COMPUTE_PGM_RSRC3_GFX90A:ACCUM_OFFSET: 3
; COMPUTE_PGM_RSRC3_GFX90A:TG_SPLIT: 0
	.section	.text._ZN9rocsolver6v33100L11gemm_kernelI19rocblas_complex_numIfEiS3_PKPS3_S4_S4_EEvT0_S7_S7_T1_bT2_lS7_S7_lbT3_lS7_S7_lS8_T4_lS7_S7_l,"axG",@progbits,_ZN9rocsolver6v33100L11gemm_kernelI19rocblas_complex_numIfEiS3_PKPS3_S4_S4_EEvT0_S7_S7_T1_bT2_lS7_S7_lbT3_lS7_S7_lS8_T4_lS7_S7_l,comdat
	.globl	_ZN9rocsolver6v33100L11gemm_kernelI19rocblas_complex_numIfEiS3_PKPS3_S4_S4_EEvT0_S7_S7_T1_bT2_lS7_S7_lbT3_lS7_S7_lS8_T4_lS7_S7_l ; -- Begin function _ZN9rocsolver6v33100L11gemm_kernelI19rocblas_complex_numIfEiS3_PKPS3_S4_S4_EEvT0_S7_S7_T1_bT2_lS7_S7_lbT3_lS7_S7_lS8_T4_lS7_S7_l
	.p2align	8
	.type	_ZN9rocsolver6v33100L11gemm_kernelI19rocblas_complex_numIfEiS3_PKPS3_S4_S4_EEvT0_S7_S7_T1_bT2_lS7_S7_lbT3_lS7_S7_lS8_T4_lS7_S7_l,@function
_ZN9rocsolver6v33100L11gemm_kernelI19rocblas_complex_numIfEiS3_PKPS3_S4_S4_EEvT0_S7_S7_T1_bT2_lS7_S7_lbT3_lS7_S7_lS8_T4_lS7_S7_l: ; @_ZN9rocsolver6v33100L11gemm_kernelI19rocblas_complex_numIfEiS3_PKPS3_S4_S4_EEvT0_S7_S7_T1_bT2_lS7_S7_lbT3_lS7_S7_lS8_T4_lS7_S7_l
; %bb.0:
	s_load_dword s9, s[4:5], 0x94
	s_load_dwordx4 s[0:3], s[4:5], 0x0
	v_and_b32_e32 v1, 0x3ff, v0
	v_bfe_u32 v0, v0, 10, 10
	s_waitcnt lgkmcnt(0)
	s_lshr_b32 s10, s9, 16
	s_and_b32 s9, s9, 0xffff
	s_mul_i32 s6, s6, s9
	s_mul_i32 s7, s7, s10
	v_add_u32_e32 v8, s6, v1
	v_add_u32_e32 v9, s7, v0
	v_cmp_gt_i32_e32 vcc, s0, v8
	v_cmp_gt_i32_e64 s[0:1], s1, v9
	s_and_b64 s[0:1], vcc, s[0:1]
	s_and_saveexec_b64 s[6:7], s[0:1]
	s_cbranch_execz .LBB24_9
; %bb.1:
	s_load_dwordx2 s[6:7], s[4:5], 0x10
	s_load_dwordx2 s[0:1], s[4:5], 0x60
	s_ashr_i32 s9, s8, 31
	s_cmp_lt_i32 s2, 1
	v_mov_b32_e32 v10, 0
	v_mov_b32_e32 v11, 0
	s_cbranch_scc1 .LBB24_8
; %bb.2:
	s_load_dwordx4 s[24:27], s[4:5], 0x18
	s_load_dwordx2 s[10:11], s[4:5], 0x28
	s_load_dword s22, s[4:5], 0x38
	s_load_dwordx8 s[12:19], s[4:5], 0x40
	s_lshl_b64 s[20:21], s[8:9], 3
	s_waitcnt lgkmcnt(0)
	s_add_u32 s20, s24, s20
	s_addc_u32 s21, s25, s21
	s_load_dwordx2 s[24:25], s[20:21], 0x0
	s_bitcmp1_b32 s7, 0
	s_cselect_b64 s[20:21], -1, 0
	s_xor_b64 s[20:21], s[20:21], -1
	s_bitcmp1_b32 s22, 0
	s_cselect_b64 s[22:23], -1, 0
	s_lshl_b64 s[26:27], s[26:27], 3
	s_waitcnt lgkmcnt(0)
	s_add_u32 s7, s24, s26
	s_addc_u32 s24, s25, s27
	s_mul_i32 s19, s8, s19
	s_mul_hi_u32 s25, s8, s18
	s_add_i32 s19, s25, s19
	s_mul_i32 s25, s9, s18
	s_add_i32 s19, s19, s25
	s_mul_i32 s18, s8, s18
	s_lshl_b64 s[18:19], s[18:19], 3
	s_add_u32 s18, s12, s18
	s_addc_u32 s19, s13, s19
	s_lshl_b64 s[12:13], s[14:15], 3
	s_add_u32 s14, s18, s12
	s_addc_u32 s12, s19, s13
	v_mul_lo_u32 v0, v8, s10
	v_mul_lo_u32 v2, v9, s17
	v_mov_b32_e32 v10, 0
	v_mov_b32_e32 v12, s24
	;; [unrolled: 1-line block ×4, first 2 shown]
	s_branch .LBB24_4
.LBB24_3:                               ;   in Loop: Header=BB24_4 Depth=1
	v_ashrrev_i32_e32 v3, 31, v2
	v_lshlrev_b64 v[6:7], 3, v[2:3]
	v_add_co_u32_e32 v6, vcc, s14, v6
	v_addc_co_u32_e32 v7, vcc, v13, v7, vcc
	global_load_dwordx2 v[6:7], v[6:7], off
	s_add_i32 s2, s2, -1
	v_add_u32_e32 v2, s16, v2
	s_cmp_eq_u32 s2, 0
	v_add_u32_e32 v0, s11, v0
	s_waitcnt vmcnt(0)
	v_cndmask_b32_e64 v1, v7, -v7, s[22:23]
	v_mul_f32_e32 v3, v6, v5
	v_mul_f32_e32 v5, v1, v5
	v_fmac_f32_e32 v3, v1, v4
	v_fma_f32 v1, v6, v4, -v5
	v_add_f32_e32 v10, v10, v3
	v_add_f32_e32 v11, v11, v1
	s_cbranch_scc1 .LBB24_8
.LBB24_4:                               ; =>This Inner Loop Header: Depth=1
	v_ashrrev_i32_e32 v1, 31, v0
	v_lshlrev_b64 v[4:5], 3, v[0:1]
	v_add_co_u32_e32 v6, vcc, s7, v4
	v_addc_co_u32_e32 v7, vcc, v12, v5, vcc
	s_and_b64 vcc, exec, s[20:21]
	s_cbranch_vccz .LBB24_6
; %bb.5:                                ;   in Loop: Header=BB24_4 Depth=1
	global_load_dwordx2 v[4:5], v[6:7], off
	s_cbranch_execnz .LBB24_3
	s_branch .LBB24_7
.LBB24_6:                               ;   in Loop: Header=BB24_4 Depth=1
                                        ; implicit-def: $vgpr5
.LBB24_7:                               ;   in Loop: Header=BB24_4 Depth=1
	global_load_dwordx2 v[4:5], v[6:7], off
	s_waitcnt vmcnt(0)
	v_xor_b32_e32 v5, 0x80000000, v5
	s_branch .LBB24_3
.LBB24_8:
	s_load_dwordx8 s[12:19], s[4:5], 0x68
	s_waitcnt lgkmcnt(0)
	v_mul_f32_e32 v4, s6, v10
	v_mul_f32_e32 v5, s3, v10
	v_fma_f32 v4, s3, v11, -v4
	v_fmac_f32_e32 v5, s6, v11
	s_mul_i32 s2, s8, s19
	s_mul_hi_u32 s5, s8, s18
	s_mul_i32 s7, s9, s18
	s_add_i32 s2, s5, s2
	s_mul_i32 s4, s8, s18
	s_add_i32 s5, s2, s7
	s_lshl_b64 s[4:5], s[4:5], 3
	s_add_u32 s2, s12, s4
	s_addc_u32 s7, s13, s5
	s_lshl_b64 s[4:5], s[14:15], 3
	s_add_u32 s2, s2, s4
	v_mul_lo_u32 v0, v8, s16
	s_addc_u32 s7, s7, s5
	v_mad_u64_u32 v[0:1], s[4:5], v9, s17, v[0:1]
	v_ashrrev_i32_e32 v1, 31, v0
	v_lshlrev_b64 v[0:1], 3, v[0:1]
	v_mov_b32_e32 v2, s7
	v_add_co_u32_e32 v0, vcc, s2, v0
	v_addc_co_u32_e32 v1, vcc, v2, v1, vcc
	global_load_dwordx2 v[2:3], v[0:1], off
	s_waitcnt vmcnt(0)
	v_mul_f32_e32 v6, s1, v3
	v_mul_f32_e32 v3, s0, v3
	v_fma_f32 v6, s0, v2, -v6
	v_fmac_f32_e32 v3, s1, v2
	v_add_f32_e32 v2, v4, v6
	v_add_f32_e32 v3, v5, v3
	global_store_dwordx2 v[0:1], v[2:3], off
.LBB24_9:
	s_endpgm
	.section	.rodata,"a",@progbits
	.p2align	6, 0x0
	.amdhsa_kernel _ZN9rocsolver6v33100L11gemm_kernelI19rocblas_complex_numIfEiS3_PKPS3_S4_S4_EEvT0_S7_S7_T1_bT2_lS7_S7_lbT3_lS7_S7_lS8_T4_lS7_S7_l
		.amdhsa_group_segment_fixed_size 0
		.amdhsa_private_segment_fixed_size 0
		.amdhsa_kernarg_size 392
		.amdhsa_user_sgpr_count 6
		.amdhsa_user_sgpr_private_segment_buffer 1
		.amdhsa_user_sgpr_dispatch_ptr 0
		.amdhsa_user_sgpr_queue_ptr 0
		.amdhsa_user_sgpr_kernarg_segment_ptr 1
		.amdhsa_user_sgpr_dispatch_id 0
		.amdhsa_user_sgpr_flat_scratch_init 0
		.amdhsa_user_sgpr_kernarg_preload_length 0
		.amdhsa_user_sgpr_kernarg_preload_offset 0
		.amdhsa_user_sgpr_private_segment_size 0
		.amdhsa_uses_dynamic_stack 0
		.amdhsa_system_sgpr_private_segment_wavefront_offset 0
		.amdhsa_system_sgpr_workgroup_id_x 1
		.amdhsa_system_sgpr_workgroup_id_y 1
		.amdhsa_system_sgpr_workgroup_id_z 1
		.amdhsa_system_sgpr_workgroup_info 0
		.amdhsa_system_vgpr_workitem_id 1
		.amdhsa_next_free_vgpr 14
		.amdhsa_next_free_sgpr 28
		.amdhsa_accum_offset 16
		.amdhsa_reserve_vcc 1
		.amdhsa_reserve_flat_scratch 0
		.amdhsa_float_round_mode_32 0
		.amdhsa_float_round_mode_16_64 0
		.amdhsa_float_denorm_mode_32 3
		.amdhsa_float_denorm_mode_16_64 3
		.amdhsa_dx10_clamp 1
		.amdhsa_ieee_mode 1
		.amdhsa_fp16_overflow 0
		.amdhsa_tg_split 0
		.amdhsa_exception_fp_ieee_invalid_op 0
		.amdhsa_exception_fp_denorm_src 0
		.amdhsa_exception_fp_ieee_div_zero 0
		.amdhsa_exception_fp_ieee_overflow 0
		.amdhsa_exception_fp_ieee_underflow 0
		.amdhsa_exception_fp_ieee_inexact 0
		.amdhsa_exception_int_div_zero 0
	.end_amdhsa_kernel
	.section	.text._ZN9rocsolver6v33100L11gemm_kernelI19rocblas_complex_numIfEiS3_PKPS3_S4_S4_EEvT0_S7_S7_T1_bT2_lS7_S7_lbT3_lS7_S7_lS8_T4_lS7_S7_l,"axG",@progbits,_ZN9rocsolver6v33100L11gemm_kernelI19rocblas_complex_numIfEiS3_PKPS3_S4_S4_EEvT0_S7_S7_T1_bT2_lS7_S7_lbT3_lS7_S7_lS8_T4_lS7_S7_l,comdat
.Lfunc_end24:
	.size	_ZN9rocsolver6v33100L11gemm_kernelI19rocblas_complex_numIfEiS3_PKPS3_S4_S4_EEvT0_S7_S7_T1_bT2_lS7_S7_lbT3_lS7_S7_lS8_T4_lS7_S7_l, .Lfunc_end24-_ZN9rocsolver6v33100L11gemm_kernelI19rocblas_complex_numIfEiS3_PKPS3_S4_S4_EEvT0_S7_S7_T1_bT2_lS7_S7_lbT3_lS7_S7_lS8_T4_lS7_S7_l
                                        ; -- End function
	.section	.AMDGPU.csdata,"",@progbits
; Kernel info:
; codeLenInByte = 628
; NumSgprs: 32
; NumVgprs: 14
; NumAgprs: 0
; TotalNumVgprs: 14
; ScratchSize: 0
; MemoryBound: 0
; FloatMode: 240
; IeeeMode: 1
; LDSByteSize: 0 bytes/workgroup (compile time only)
; SGPRBlocks: 3
; VGPRBlocks: 1
; NumSGPRsForWavesPerEU: 32
; NumVGPRsForWavesPerEU: 14
; AccumOffset: 16
; Occupancy: 8
; WaveLimiterHint : 1
; COMPUTE_PGM_RSRC2:SCRATCH_EN: 0
; COMPUTE_PGM_RSRC2:USER_SGPR: 6
; COMPUTE_PGM_RSRC2:TRAP_HANDLER: 0
; COMPUTE_PGM_RSRC2:TGID_X_EN: 1
; COMPUTE_PGM_RSRC2:TGID_Y_EN: 1
; COMPUTE_PGM_RSRC2:TGID_Z_EN: 1
; COMPUTE_PGM_RSRC2:TIDIG_COMP_CNT: 1
; COMPUTE_PGM_RSRC3_GFX90A:ACCUM_OFFSET: 3
; COMPUTE_PGM_RSRC3_GFX90A:TG_SPLIT: 0
	.section	.text._ZN9rocsolver6v33100L16mfma_gemm_kernelI19rocblas_complex_numIfEiPKS3_PS3_PKS6_S6_EEv18rocblas_operation_S9_T0_SA_SA_T1_T2_lSA_SA_lT3_lSA_SA_lSB_T4_lSA_SA_l,"axG",@progbits,_ZN9rocsolver6v33100L16mfma_gemm_kernelI19rocblas_complex_numIfEiPKS3_PS3_PKS6_S6_EEv18rocblas_operation_S9_T0_SA_SA_T1_T2_lSA_SA_lT3_lSA_SA_lSB_T4_lSA_SA_l,comdat
	.globl	_ZN9rocsolver6v33100L16mfma_gemm_kernelI19rocblas_complex_numIfEiPKS3_PS3_PKS6_S6_EEv18rocblas_operation_S9_T0_SA_SA_T1_T2_lSA_SA_lT3_lSA_SA_lSB_T4_lSA_SA_l ; -- Begin function _ZN9rocsolver6v33100L16mfma_gemm_kernelI19rocblas_complex_numIfEiPKS3_PS3_PKS6_S6_EEv18rocblas_operation_S9_T0_SA_SA_T1_T2_lSA_SA_lT3_lSA_SA_lSB_T4_lSA_SA_l
	.p2align	8
	.type	_ZN9rocsolver6v33100L16mfma_gemm_kernelI19rocblas_complex_numIfEiPKS3_PS3_PKS6_S6_EEv18rocblas_operation_S9_T0_SA_SA_T1_T2_lSA_SA_lT3_lSA_SA_lSB_T4_lSA_SA_l,@function
_ZN9rocsolver6v33100L16mfma_gemm_kernelI19rocblas_complex_numIfEiPKS3_PS3_PKS6_S6_EEv18rocblas_operation_S9_T0_SA_SA_T1_T2_lSA_SA_lT3_lSA_SA_lSB_T4_lSA_SA_l: ; @_ZN9rocsolver6v33100L16mfma_gemm_kernelI19rocblas_complex_numIfEiPKS3_PS3_PKS6_S6_EEv18rocblas_operation_S9_T0_SA_SA_T1_T2_lSA_SA_lT3_lSA_SA_lSB_T4_lSA_SA_l
; %bb.0:
	s_load_dword s0, s[6:7], 0x94
	s_load_dwordx4 s[24:27], s[6:7], 0x0
	v_and_b32_e32 v17, 0x3ff, v0
	v_bfe_u32 v1, v0, 10, 10
	v_lshrrev_b32_e32 v2, 6, v17
	s_waitcnt lgkmcnt(0)
	s_lshr_b32 s1, s0, 16
	s_bfe_u32 s0, s0, 0xa0006
	s_mul_i32 s8, s8, s0
	s_mul_i32 s9, s9, s1
	v_add_lshl_u32 v18, s8, v2, 4
	v_add_u32_e32 v2, s9, v1
	v_lshlrev_b32_e32 v19, 4, v2
	v_cmp_gt_i32_e32 vcc, s26, v18
	v_cmp_gt_i32_e64 s[0:1], s27, v19
	s_and_b64 s[0:1], vcc, s[0:1]
	s_and_saveexec_b64 s[2:3], s[0:1]
	s_cbranch_execz .LBB25_37
; %bb.1:
	s_load_dwordx2 s[8:9], s[4:5], 0x4
	s_load_dword s33, s[6:7], 0x10
	s_load_dwordx4 s[0:3], s[6:7], 0x18
	s_load_dwordx2 s[36:37], s[6:7], 0x70
	s_load_dwordx4 s[20:23], s[6:7], 0x60
	s_waitcnt lgkmcnt(0)
	s_lshr_b32 s4, s8, 16
	s_mul_i32 s4, s4, s9
	v_mul_lo_u32 v2, s4, v17
	s_ashr_i32 s4, s26, 31
	s_lshr_b32 s4, s4, 28
	s_add_i32 s4, s26, s4
	s_and_b32 s4, s4, -16
	v_mul_u32_u24_e32 v1, s9, v1
	v_bfe_u32 v0, v0, 20, 10
	s_sub_i32 s4, s26, s4
	v_add3_u32 v0, v2, v1, v0
	v_mov_b32_e32 v1, s4
	s_ashr_i32 s4, s27, 31
	s_lshr_b32 s4, s4, 28
	v_mul_lo_u32 v24, v0, 20
	v_add_u32_e32 v0, 16, v18
	s_add_i32 s4, s27, s4
	v_cmp_lt_i32_e32 vcc, s26, v0
	v_add_u32_e32 v0, 16, v19
	s_and_b32 s4, s4, -16
	v_cndmask_b32_e32 v16, 16, v1, vcc
	s_sub_i32 s4, s27, s4
	v_cmp_lt_i32_e32 vcc, s27, v0
	s_load_dwordx2 s[34:35], s[0:1], 0x0
	s_load_dwordx2 s[26:27], s[20:21], 0x0
	v_mov_b32_e32 v1, s4
	v_cndmask_b32_e32 v20, 16, v1, vcc
	s_ashr_i32 s11, s10, 31
	v_bfe_u32 v21, v17, 2, 4
	v_and_b32_e32 v22, 3, v17
	s_cmp_lt_i32 s33, 1
	v_mov_b32_e32 v1, 0
	s_mov_b32 s38, 0
	v_cmp_lt_i32_e64 s[0:1], v21, v20
	v_mbcnt_lo_u32_b32 v23, -1, 0
	v_mov_b32_e32 v2, 0
	v_mov_b32_e32 v13, 0
	;; [unrolled: 1-line block ×7, first 2 shown]
	ds_write2_b32 v24, v1, v1 offset0:2 offset1:3
	ds_write2_b32 v24, v1, v1 offset1:1
	ds_write_b32 v24, v1 offset:16
	s_cbranch_scc1 .LBB25_29
; %bb.2:
	s_load_dwordx8 s[12:19], s[6:7], 0x28
	s_load_dwordx4 s[28:31], s[6:7], 0x48
	v_and_b32_e32 v2, 63, v17
	v_lshrrev_b32_e32 v29, 4, v2
	s_waitcnt lgkmcnt(0)
	s_mul_i32 s5, s10, s17
	s_mul_hi_u32 s8, s10, s16
	s_mul_i32 s9, s11, s16
	s_add_i32 s5, s8, s5
	s_mul_i32 s4, s10, s16
	s_add_i32 s5, s5, s9
	s_lshl_b64 s[4:5], s[4:5], 3
	s_add_u32 s4, s2, s4
	s_addc_u32 s5, s3, s5
	s_lshl_b64 s[2:3], s[12:13], 3
	s_add_u32 s8, s4, s2
	s_addc_u32 s9, s5, s3
	s_lshl_b64 s[2:3], s[10:11], 3
	s_add_u32 s2, s18, s2
	s_addc_u32 s3, s19, s3
	s_load_dwordx2 s[2:3], s[2:3], 0x0
	s_lshl_b64 s[4:5], s[28:29], 3
	v_mov_b32_e32 v3, s9
	s_waitcnt lgkmcnt(0)
	s_add_u32 s2, s2, s4
	s_addc_u32 s3, s3, s5
	s_cmpk_lg_i32 s24, 0x6f
	s_cselect_b64 s[12:13], -1, 0
	s_cmpk_eq_i32 s24, 0x6f
	s_cselect_b32 s4, s14, s15
	v_mul_lo_u32 v0, v18, s4
	s_cmpk_lg_i32 s25, 0x6f
	v_ashrrev_i32_e32 v1, 31, v0
	s_cselect_b64 s[16:17], -1, 0
	s_cmpk_eq_i32 s25, 0x6f
	v_lshlrev_b64 v[0:1], 3, v[0:1]
	s_cselect_b32 s4, s31, s30
	v_add_co_u32_e32 v25, vcc, s8, v0
	v_mul_lo_u32 v0, v19, s4
	v_addc_co_u32_e32 v26, vcc, v3, v1, vcc
	v_ashrrev_i32_e32 v1, 31, v0
	v_lshlrev_b64 v[0:1], 3, v[0:1]
	v_mov_b32_e32 v3, s3
	v_add_co_u32_e32 v27, vcc, s2, v0
	v_addc_co_u32_e32 v28, vcc, v3, v1, vcc
	v_and_b32_e32 v1, 15, v17
	v_mul_lo_u32 v0, v1, s14
	s_cmpk_eq_i32 s24, 0x71
	s_cselect_b64 s[18:19], -1, 0
	s_cmpk_eq_i32 s25, 0x71
	v_mad_u64_u32 v[4:5], s[24:25], s15, v29, v[0:1]
	v_mul_lo_u32 v0, s14, v22
	v_mad_u64_u32 v[6:7], s[24:25], v21, s15, v[0:1]
	v_mul_lo_u32 v0, s30, v22
	v_lshl_or_b32 v3, v1, 2, v29
	v_cmp_lt_i32_e64 s[4:5], v1, v16
	v_cmp_lt_i32_e64 s[8:9], v1, v20
	v_mul_lo_u32 v2, v1, s30
	s_cselect_b64 s[20:21], -1, 0
	s_lshl_b32 s28, s15, 2
	s_lshl_b32 s29, s14, 2
	v_mad_u64_u32 v[8:9], s[14:15], v21, s31, v[0:1]
	v_mbcnt_hi_u32_b32 v1, -1, v23
	v_mov_b32_e32 v0, 0
	v_and_or_b32 v1, v1, 64, v3
	v_cmp_lt_i32_e64 s[2:3], v21, v16
	s_lshl_b32 s30, s30, 2
	v_mad_u64_u32 v[10:11], s[14:15], s31, v29, v[2:3]
	s_lshl_b32 s31, s31, 2
	v_lshlrev_b32_e32 v30, 2, v1
	v_mov_b32_e32 v3, v0
	v_mov_b32_e32 v2, v0
	;; [unrolled: 1-line block ×3, first 2 shown]
	s_branch .LBB25_6
.LBB25_3:                               ;   in Loop: Header=BB25_6 Depth=1
	s_or_b64 exec, exec, s[24:25]
.LBB25_4:                               ;   in Loop: Header=BB25_6 Depth=1
	s_or_b64 exec, exec, s[14:15]
	s_waitcnt vmcnt(0)
	ds_bpermute_b32 v14, v30, v14
	ds_bpermute_b32 v15, v30, v15
.LBB25_5:                               ;   in Loop: Header=BB25_6 Depth=1
	s_waitcnt vmcnt(0) lgkmcnt(0)
	v_cndmask_b32_e64 v7, v13, -v13, s[18:19]
	v_cndmask_b32_e64 v5, v15, -v15, s[20:21]
	v_mfma_f32_16x16x4f32 v[32:35], v12, v14, 0
	s_add_i32 s38, s38, 4
	v_add_u32_e32 v4, s28, v4
	v_add_u32_e32 v6, s29, v6
	;; [unrolled: 1-line block ×3, first 2 shown]
	s_cmp_ge_i32 s38, s33
	v_add_u32_e32 v10, s31, v10
	v_mfma_f32_16x16x4f32 v[40:43], v7, v5, 0
	v_mfma_f32_16x16x4f32 v[36:39], v12, v5, 0
	ds_read2_b32 v[12:13], v24 offset1:1
	ds_read2_b32 v[44:45], v24 offset0:3 offset1:4
	ds_read2_b32 v[46:47], v24 offset0:2 offset1:3
	;; [unrolled: 1-line block ×3, first 2 shown]
	s_nop 5
	v_sub_f32_e32 v35, v35, v43
	v_sub_f32_e32 v34, v34, v42
	;; [unrolled: 1-line block ×4, first 2 shown]
	s_waitcnt lgkmcnt(1)
	v_mov_b32_e32 v13, v46
	v_pk_add_f32 v[12:13], v[12:13], v[32:33]
	v_pk_add_f32 v[0:1], v[0:1], v[34:35]
	v_mfma_f32_16x16x4f32 v[32:35], v7, v14, 0
	s_waitcnt lgkmcnt(0)
	v_mov_b32_e32 v49, v44
	s_nop 7
	s_nop 0
	v_pk_add_f32 v[14:15], v[38:39], v[34:35]
	v_pk_add_f32 v[32:33], v[36:37], v[32:33]
	;; [unrolled: 1-line block ×4, first 2 shown]
	ds_write2_b32 v24, v12, v14 offset1:1
	v_mov_b32_e32 v12, v13
	v_mov_b32_e32 v5, v15
	ds_write2_b32 v24, v13, v15 offset0:2 offset1:3
	ds_write_b32 v24, v0 offset:16
	s_cbranch_scc1 .LBB25_28
.LBB25_6:                               ; =>This Inner Loop Header: Depth=1
	s_and_b64 vcc, exec, s[12:13]
	s_cbranch_vccz .LBB25_18
; %bb.7:                                ;   in Loop: Header=BB25_6 Depth=1
	v_mov_b32_e32 v12, 0
	v_mov_b32_e32 v13, 0
	s_and_saveexec_b64 s[14:15], s[2:3]
	s_cbranch_execz .LBB25_11
; %bb.8:                                ;   in Loop: Header=BB25_6 Depth=1
	v_add_u32_e32 v5, s38, v22
	v_cmp_gt_i32_e32 vcc, s33, v5
	v_mov_b32_e32 v13, 0
	v_mov_b32_e32 v12, 0
	s_and_saveexec_b64 s[24:25], vcc
	s_cbranch_execz .LBB25_10
; %bb.9:                                ;   in Loop: Header=BB25_6 Depth=1
	v_ashrrev_i32_e32 v7, 31, v6
	v_lshlrev_b64 v[12:13], 3, v[6:7]
	v_add_co_u32_e32 v12, vcc, v25, v12
	v_addc_co_u32_e32 v13, vcc, v26, v13, vcc
	global_load_dwordx2 v[12:13], v[12:13], off
.LBB25_10:                              ;   in Loop: Header=BB25_6 Depth=1
	s_or_b64 exec, exec, s[24:25]
.LBB25_11:                              ;   in Loop: Header=BB25_6 Depth=1
	s_or_b64 exec, exec, s[14:15]
	s_waitcnt vmcnt(0)
	ds_bpermute_b32 v12, v30, v12
	ds_bpermute_b32 v13, v30, v13
.LBB25_12:                              ;   in Loop: Header=BB25_6 Depth=1
	s_and_b64 vcc, exec, s[16:17]
	s_cbranch_vccz .LBB25_24
.LBB25_13:                              ;   in Loop: Header=BB25_6 Depth=1
	v_mov_b32_e32 v15, 0
	v_mov_b32_e32 v14, 0
	s_and_saveexec_b64 s[14:15], s[8:9]
	s_cbranch_execz .LBB25_17
; %bb.14:                               ;   in Loop: Header=BB25_6 Depth=1
	v_add_u32_e32 v5, s38, v29
	v_cmp_gt_i32_e32 vcc, s33, v5
	v_mov_b32_e32 v15, 0
	v_mov_b32_e32 v14, 0
	s_and_saveexec_b64 s[24:25], vcc
	s_cbranch_execz .LBB25_16
; %bb.15:                               ;   in Loop: Header=BB25_6 Depth=1
	v_ashrrev_i32_e32 v11, 31, v10
	v_lshlrev_b64 v[14:15], 3, v[10:11]
	v_add_co_u32_e32 v14, vcc, v27, v14
	v_addc_co_u32_e32 v15, vcc, v28, v15, vcc
	global_load_dwordx2 v[14:15], v[14:15], off
.LBB25_16:                              ;   in Loop: Header=BB25_6 Depth=1
	s_or_b64 exec, exec, s[24:25]
.LBB25_17:                              ;   in Loop: Header=BB25_6 Depth=1
	s_or_b64 exec, exec, s[14:15]
	s_cbranch_execnz .LBB25_5
	s_branch .LBB25_25
.LBB25_18:                              ;   in Loop: Header=BB25_6 Depth=1
                                        ; implicit-def: $vgpr13
	s_cbranch_execz .LBB25_12
; %bb.19:                               ;   in Loop: Header=BB25_6 Depth=1
	s_waitcnt lgkmcnt(0)
	v_mov_b32_e32 v13, 0
	v_mov_b32_e32 v12, 0
	s_and_saveexec_b64 s[14:15], s[4:5]
	s_cbranch_execz .LBB25_23
; %bb.20:                               ;   in Loop: Header=BB25_6 Depth=1
	v_add_u32_e32 v5, s38, v29
	v_cmp_gt_i32_e32 vcc, s33, v5
	v_mov_b32_e32 v13, 0
	v_mov_b32_e32 v12, 0
	s_and_saveexec_b64 s[24:25], vcc
	s_cbranch_execz .LBB25_22
; %bb.21:                               ;   in Loop: Header=BB25_6 Depth=1
	v_ashrrev_i32_e32 v5, 31, v4
	v_lshlrev_b64 v[12:13], 3, v[4:5]
	v_add_co_u32_e32 v12, vcc, v25, v12
	v_addc_co_u32_e32 v13, vcc, v26, v13, vcc
	global_load_dwordx2 v[12:13], v[12:13], off
.LBB25_22:                              ;   in Loop: Header=BB25_6 Depth=1
	s_or_b64 exec, exec, s[24:25]
.LBB25_23:                              ;   in Loop: Header=BB25_6 Depth=1
	s_or_b64 exec, exec, s[14:15]
	s_and_b64 vcc, exec, s[16:17]
	s_cbranch_vccnz .LBB25_13
.LBB25_24:                              ;   in Loop: Header=BB25_6 Depth=1
                                        ; implicit-def: $vgpr15
.LBB25_25:                              ;   in Loop: Header=BB25_6 Depth=1
	s_waitcnt vmcnt(0)
	v_mov_b32_e32 v14, 0
	v_mov_b32_e32 v15, 0
	s_and_saveexec_b64 s[14:15], s[0:1]
	s_cbranch_execz .LBB25_4
; %bb.26:                               ;   in Loop: Header=BB25_6 Depth=1
	v_add_u32_e32 v5, s38, v22
	v_cmp_gt_i32_e32 vcc, s33, v5
	v_mov_b32_e32 v15, 0
	v_mov_b32_e32 v14, 0
	s_and_saveexec_b64 s[24:25], vcc
	s_cbranch_execz .LBB25_3
; %bb.27:                               ;   in Loop: Header=BB25_6 Depth=1
	v_ashrrev_i32_e32 v9, 31, v8
	v_lshlrev_b64 v[14:15], 3, v[8:9]
	v_add_co_u32_e32 v14, vcc, v27, v14
	v_addc_co_u32_e32 v15, vcc, v28, v15, vcc
	global_load_dwordx2 v[14:15], v[14:15], off
	s_branch .LBB25_3
.LBB25_28:
	ds_read_b32 v4, v24
.LBB25_29:
	s_load_dwordx4 s[4:7], s[6:7], 0x78
	v_mbcnt_hi_u32_b32 v9, -1, v23
	v_and_b32_e32 v9, 64, v9
	s_waitcnt lgkmcnt(0)
	s_mul_i32 s1, s10, s7
	s_mul_hi_u32 s2, s10, s6
	s_mul_i32 s3, s11, s6
	s_add_i32 s1, s2, s1
	s_mul_i32 s0, s10, s6
	s_add_i32 s1, s1, s3
	s_lshl_b64 s[0:1], s[0:1], 3
	s_add_u32 s2, s22, s0
	s_addc_u32 s3, s23, s1
	s_lshl_b64 s[0:1], s[36:37], 3
	s_add_u32 s2, s2, s0
	v_mul_lo_u32 v6, v18, s4
	s_addc_u32 s3, s3, s1
	v_mad_u64_u32 v[6:7], s[0:1], v19, s5, v[6:7]
	v_ashrrev_i32_e32 v7, 31, v6
	v_lshlrev_b64 v[6:7], 3, v[6:7]
	v_mov_b32_e32 v8, s3
	v_add_co_u32_e32 v5, vcc, s2, v6
	v_addc_co_u32_e32 v6, vcc, v8, v7, vcc
	v_lshlrev_b32_e32 v8, 4, v17
	v_and_b32_e32 v8, 48, v8
	v_or3_b32 v8, v8, v9, v21
	v_lshlrev_b32_e32 v8, 2, v8
	ds_bpermute_b32 v9, v8, v4
	ds_bpermute_b32 v10, v8, v14
	v_lshlrev_b32_e32 v7, 2, v22
	v_cmp_lt_i32_e32 vcc, v21, v20
	v_cmp_lt_i32_e64 s[0:1], v7, v16
	v_mul_lo_u32 v4, v21, s5
	s_and_b64 s[0:1], vcc, s[0:1]
	s_and_saveexec_b64 s[2:3], s[0:1]
	s_cbranch_execz .LBB25_31
; %bb.30:
	v_mad_u64_u32 v[18:19], s[0:1], v7, s4, v[4:5]
	v_ashrrev_i32_e32 v19, 31, v18
	v_lshlrev_b64 v[18:19], 3, v[18:19]
	v_add_co_u32_e64 v18, s[0:1], v5, v18
	v_addc_co_u32_e64 v19, s[0:1], v6, v19, s[0:1]
	global_load_dwordx2 v[20:21], v[18:19], off
	s_waitcnt lgkmcnt(0)
	v_mul_f32_e32 v11, s35, v10
	v_mul_f32_e32 v12, s35, v9
	v_fma_f32 v9, s34, v9, -v11
	v_fmac_f32_e32 v12, s34, v10
	s_waitcnt vmcnt(0)
	v_mul_f32_e32 v10, s27, v21
	v_mul_f32_e32 v11, s26, v21
	v_fma_f32 v10, s26, v20, -v10
	v_fmac_f32_e32 v11, s27, v20
	v_add_f32_e32 v10, v9, v10
	v_add_f32_e32 v11, v12, v11
	global_store_dwordx2 v[18:19], v[10:11], off
.LBB25_31:
	s_or_b64 exec, exec, s[2:3]
	s_waitcnt lgkmcnt(1)
	ds_bpermute_b32 v9, v8, v13
	s_waitcnt lgkmcnt(1)
	ds_bpermute_b32 v10, v8, v15
	v_or_b32_e32 v11, 1, v7
	v_cmp_lt_i32_e64 s[0:1], v11, v16
	s_and_b64 s[0:1], vcc, s[0:1]
	s_and_saveexec_b64 s[2:3], s[0:1]
	s_cbranch_execz .LBB25_33
; %bb.32:
	v_mad_u64_u32 v[12:13], s[0:1], v11, s4, v[4:5]
	v_ashrrev_i32_e32 v13, 31, v12
	v_lshlrev_b64 v[12:13], 3, v[12:13]
	v_add_co_u32_e64 v12, s[0:1], v5, v12
	v_addc_co_u32_e64 v13, s[0:1], v6, v13, s[0:1]
	global_load_dwordx2 v[14:15], v[12:13], off
	s_waitcnt lgkmcnt(0)
	v_mul_f32_e32 v11, s35, v10
	v_mul_f32_e32 v17, s34, v10
	v_fma_f32 v10, s34, v9, -v11
	v_fmac_f32_e32 v17, s35, v9
	s_waitcnt vmcnt(0)
	v_mul_f32_e32 v9, s27, v15
	v_mul_f32_e32 v11, s26, v15
	v_fma_f32 v9, s26, v14, -v9
	v_fmac_f32_e32 v11, s27, v14
	v_add_f32_e32 v10, v10, v9
	v_add_f32_e32 v11, v17, v11
	global_store_dwordx2 v[12:13], v[10:11], off
.LBB25_33:
	s_or_b64 exec, exec, s[2:3]
	ds_bpermute_b32 v0, v8, v0
	ds_bpermute_b32 v2, v8, v2
	s_waitcnt lgkmcnt(3)
	v_or_b32_e32 v9, 2, v7
	v_cmp_lt_i32_e64 s[0:1], v9, v16
	s_and_b64 s[0:1], vcc, s[0:1]
	s_and_saveexec_b64 s[2:3], s[0:1]
	s_cbranch_execz .LBB25_35
; %bb.34:
	s_waitcnt lgkmcnt(2)
	v_mad_u64_u32 v[10:11], s[0:1], v9, s4, v[4:5]
	v_ashrrev_i32_e32 v11, 31, v10
	v_lshlrev_b64 v[10:11], 3, v[10:11]
	v_add_co_u32_e64 v10, s[0:1], v5, v10
	v_addc_co_u32_e64 v11, s[0:1], v6, v11, s[0:1]
	global_load_dwordx2 v[12:13], v[10:11], off
	s_waitcnt lgkmcnt(0)
	v_mul_f32_e32 v9, s35, v2
	v_mul_f32_e32 v2, s34, v2
	v_fma_f32 v9, s34, v0, -v9
	v_fmac_f32_e32 v2, s35, v0
	s_waitcnt vmcnt(0)
	v_mul_f32_e32 v0, s27, v13
	v_mul_f32_e32 v13, s26, v13
	v_fma_f32 v0, s26, v12, -v0
	v_fmac_f32_e32 v13, s27, v12
	v_add_f32_e32 v12, v9, v0
	v_add_f32_e32 v13, v2, v13
	global_store_dwordx2 v[10:11], v[12:13], off
.LBB25_35:
	s_or_b64 exec, exec, s[2:3]
	s_waitcnt lgkmcnt(1)
	ds_bpermute_b32 v0, v8, v1
	ds_bpermute_b32 v1, v8, v3
	s_waitcnt lgkmcnt(2)
	v_or_b32_e32 v2, 3, v7
	v_cmp_lt_i32_e64 s[0:1], v2, v16
	s_and_b64 s[0:1], vcc, s[0:1]
	s_and_b64 exec, exec, s[0:1]
	s_cbranch_execz .LBB25_37
; %bb.36:
	v_mad_u64_u32 v[2:3], s[0:1], v2, s4, v[4:5]
	v_ashrrev_i32_e32 v3, 31, v2
	v_lshlrev_b64 v[2:3], 3, v[2:3]
	v_add_co_u32_e32 v2, vcc, v5, v2
	v_addc_co_u32_e32 v3, vcc, v6, v3, vcc
	global_load_dwordx2 v[4:5], v[2:3], off
	s_waitcnt lgkmcnt(0)
	v_mul_f32_e32 v6, s35, v1
	v_mul_f32_e32 v1, s34, v1
	v_fma_f32 v6, s34, v0, -v6
	v_fmac_f32_e32 v1, s35, v0
	s_waitcnt vmcnt(0)
	v_mul_f32_e32 v0, s27, v5
	v_mul_f32_e32 v5, s26, v5
	v_fma_f32 v0, s26, v4, -v0
	v_fmac_f32_e32 v5, s27, v4
	v_add_f32_e32 v0, v6, v0
	v_add_f32_e32 v1, v1, v5
	global_store_dwordx2 v[2:3], v[0:1], off
.LBB25_37:
	s_endpgm
	.section	.rodata,"a",@progbits
	.p2align	6, 0x0
	.amdhsa_kernel _ZN9rocsolver6v33100L16mfma_gemm_kernelI19rocblas_complex_numIfEiPKS3_PS3_PKS6_S6_EEv18rocblas_operation_S9_T0_SA_SA_T1_T2_lSA_SA_lT3_lSA_SA_lSB_T4_lSA_SA_l
		.amdhsa_group_segment_fixed_size 20480
		.amdhsa_private_segment_fixed_size 0
		.amdhsa_kernarg_size 392
		.amdhsa_user_sgpr_count 8
		.amdhsa_user_sgpr_private_segment_buffer 1
		.amdhsa_user_sgpr_dispatch_ptr 1
		.amdhsa_user_sgpr_queue_ptr 0
		.amdhsa_user_sgpr_kernarg_segment_ptr 1
		.amdhsa_user_sgpr_dispatch_id 0
		.amdhsa_user_sgpr_flat_scratch_init 0
		.amdhsa_user_sgpr_kernarg_preload_length 0
		.amdhsa_user_sgpr_kernarg_preload_offset 0
		.amdhsa_user_sgpr_private_segment_size 0
		.amdhsa_uses_dynamic_stack 0
		.amdhsa_system_sgpr_private_segment_wavefront_offset 0
		.amdhsa_system_sgpr_workgroup_id_x 1
		.amdhsa_system_sgpr_workgroup_id_y 1
		.amdhsa_system_sgpr_workgroup_id_z 1
		.amdhsa_system_sgpr_workgroup_info 0
		.amdhsa_system_vgpr_workitem_id 2
		.amdhsa_next_free_vgpr 50
		.amdhsa_next_free_sgpr 39
		.amdhsa_accum_offset 52
		.amdhsa_reserve_vcc 1
		.amdhsa_reserve_flat_scratch 0
		.amdhsa_float_round_mode_32 0
		.amdhsa_float_round_mode_16_64 0
		.amdhsa_float_denorm_mode_32 3
		.amdhsa_float_denorm_mode_16_64 3
		.amdhsa_dx10_clamp 1
		.amdhsa_ieee_mode 1
		.amdhsa_fp16_overflow 0
		.amdhsa_tg_split 0
		.amdhsa_exception_fp_ieee_invalid_op 0
		.amdhsa_exception_fp_denorm_src 0
		.amdhsa_exception_fp_ieee_div_zero 0
		.amdhsa_exception_fp_ieee_overflow 0
		.amdhsa_exception_fp_ieee_underflow 0
		.amdhsa_exception_fp_ieee_inexact 0
		.amdhsa_exception_int_div_zero 0
	.end_amdhsa_kernel
	.section	.text._ZN9rocsolver6v33100L16mfma_gemm_kernelI19rocblas_complex_numIfEiPKS3_PS3_PKS6_S6_EEv18rocblas_operation_S9_T0_SA_SA_T1_T2_lSA_SA_lT3_lSA_SA_lSB_T4_lSA_SA_l,"axG",@progbits,_ZN9rocsolver6v33100L16mfma_gemm_kernelI19rocblas_complex_numIfEiPKS3_PS3_PKS6_S6_EEv18rocblas_operation_S9_T0_SA_SA_T1_T2_lSA_SA_lT3_lSA_SA_lSB_T4_lSA_SA_l,comdat
.Lfunc_end25:
	.size	_ZN9rocsolver6v33100L16mfma_gemm_kernelI19rocblas_complex_numIfEiPKS3_PS3_PKS6_S6_EEv18rocblas_operation_S9_T0_SA_SA_T1_T2_lSA_SA_lT3_lSA_SA_lSB_T4_lSA_SA_l, .Lfunc_end25-_ZN9rocsolver6v33100L16mfma_gemm_kernelI19rocblas_complex_numIfEiPKS3_PS3_PKS6_S6_EEv18rocblas_operation_S9_T0_SA_SA_T1_T2_lSA_SA_lT3_lSA_SA_lSB_T4_lSA_SA_l
                                        ; -- End function
	.section	.AMDGPU.csdata,"",@progbits
; Kernel info:
; codeLenInByte = 2160
; NumSgprs: 43
; NumVgprs: 50
; NumAgprs: 0
; TotalNumVgprs: 50
; ScratchSize: 0
; MemoryBound: 0
; FloatMode: 240
; IeeeMode: 1
; LDSByteSize: 20480 bytes/workgroup (compile time only)
; SGPRBlocks: 5
; VGPRBlocks: 6
; NumSGPRsForWavesPerEU: 43
; NumVGPRsForWavesPerEU: 50
; AccumOffset: 52
; Occupancy: 8
; WaveLimiterHint : 1
; COMPUTE_PGM_RSRC2:SCRATCH_EN: 0
; COMPUTE_PGM_RSRC2:USER_SGPR: 8
; COMPUTE_PGM_RSRC2:TRAP_HANDLER: 0
; COMPUTE_PGM_RSRC2:TGID_X_EN: 1
; COMPUTE_PGM_RSRC2:TGID_Y_EN: 1
; COMPUTE_PGM_RSRC2:TGID_Z_EN: 1
; COMPUTE_PGM_RSRC2:TIDIG_COMP_CNT: 2
; COMPUTE_PGM_RSRC3_GFX90A:ACCUM_OFFSET: 12
; COMPUTE_PGM_RSRC3_GFX90A:TG_SPLIT: 0
	.section	.text._ZN9rocsolver6v33100L16mfma_gemm_kernelI19rocblas_complex_numIfEiS3_PS3_PKS4_S4_EEv18rocblas_operation_S7_T0_S8_S8_T1_T2_lS8_S8_lT3_lS8_S8_lS9_T4_lS8_S8_l,"axG",@progbits,_ZN9rocsolver6v33100L16mfma_gemm_kernelI19rocblas_complex_numIfEiS3_PS3_PKS4_S4_EEv18rocblas_operation_S7_T0_S8_S8_T1_T2_lS8_S8_lT3_lS8_S8_lS9_T4_lS8_S8_l,comdat
	.globl	_ZN9rocsolver6v33100L16mfma_gemm_kernelI19rocblas_complex_numIfEiS3_PS3_PKS4_S4_EEv18rocblas_operation_S7_T0_S8_S8_T1_T2_lS8_S8_lT3_lS8_S8_lS9_T4_lS8_S8_l ; -- Begin function _ZN9rocsolver6v33100L16mfma_gemm_kernelI19rocblas_complex_numIfEiS3_PS3_PKS4_S4_EEv18rocblas_operation_S7_T0_S8_S8_T1_T2_lS8_S8_lT3_lS8_S8_lS9_T4_lS8_S8_l
	.p2align	8
	.type	_ZN9rocsolver6v33100L16mfma_gemm_kernelI19rocblas_complex_numIfEiS3_PS3_PKS4_S4_EEv18rocblas_operation_S7_T0_S8_S8_T1_T2_lS8_S8_lT3_lS8_S8_lS9_T4_lS8_S8_l,@function
_ZN9rocsolver6v33100L16mfma_gemm_kernelI19rocblas_complex_numIfEiS3_PS3_PKS4_S4_EEv18rocblas_operation_S7_T0_S8_S8_T1_T2_lS8_S8_lT3_lS8_S8_lS9_T4_lS8_S8_l: ; @_ZN9rocsolver6v33100L16mfma_gemm_kernelI19rocblas_complex_numIfEiS3_PS3_PKS4_S4_EEv18rocblas_operation_S7_T0_S8_S8_T1_T2_lS8_S8_lT3_lS8_S8_lS9_T4_lS8_S8_l
; %bb.0:
	s_load_dword s0, s[6:7], 0x94
	s_load_dwordx4 s[24:27], s[6:7], 0x0
	v_and_b32_e32 v17, 0x3ff, v0
	v_bfe_u32 v1, v0, 10, 10
	v_lshrrev_b32_e32 v2, 6, v17
	s_waitcnt lgkmcnt(0)
	s_lshr_b32 s1, s0, 16
	s_bfe_u32 s0, s0, 0xa0006
	s_mul_i32 s8, s8, s0
	s_mul_i32 s9, s9, s1
	v_add_lshl_u32 v18, s8, v2, 4
	v_add_u32_e32 v2, s9, v1
	v_lshlrev_b32_e32 v19, 4, v2
	v_cmp_gt_i32_e32 vcc, s26, v18
	v_cmp_gt_i32_e64 s[0:1], s27, v19
	s_and_b64 s[0:1], vcc, s[0:1]
	s_and_saveexec_b64 s[2:3], s[0:1]
	s_cbranch_execz .LBB26_37
; %bb.1:
	s_load_dwordx2 s[0:1], s[4:5], 0x4
	v_bfe_u32 v0, v0, 20, 10
	s_load_dwordx4 s[20:23], s[6:7], 0x10
	s_load_dwordx2 s[28:29], s[6:7], 0x60
	s_ashr_i32 s11, s10, 31
	v_bfe_u32 v21, v17, 2, 4
	s_waitcnt lgkmcnt(0)
	s_lshr_b32 s0, s0, 16
	s_mul_i32 s0, s0, s1
	v_mul_lo_u32 v2, s0, v17
	s_ashr_i32 s0, s26, 31
	s_lshr_b32 s0, s0, 28
	s_add_i32 s0, s26, s0
	s_and_b32 s0, s0, -16
	v_mul_u32_u24_e32 v1, s1, v1
	s_sub_i32 s0, s26, s0
	v_add3_u32 v0, v2, v1, v0
	v_mov_b32_e32 v1, s0
	s_ashr_i32 s0, s27, 31
	s_lshr_b32 s0, s0, 28
	s_add_i32 s0, s27, s0
	v_mul_lo_u32 v24, v0, 20
	v_add_u32_e32 v0, 16, v18
	s_and_b32 s0, s0, -16
	v_cmp_lt_i32_e32 vcc, s26, v0
	v_add_u32_e32 v0, 16, v19
	s_sub_i32 s0, s27, s0
	v_cndmask_b32_e32 v16, 16, v1, vcc
	v_mov_b32_e32 v1, s0
	v_cmp_lt_i32_e32 vcc, s27, v0
	v_cndmask_b32_e32 v20, 16, v1, vcc
	v_and_b32_e32 v22, 3, v17
	s_cmp_lt_i32 s20, 1
	v_mov_b32_e32 v1, 0
	s_mov_b32 s23, 0
	v_cmp_lt_i32_e64 s[0:1], v21, v20
	v_mbcnt_lo_u32_b32 v23, -1, 0
	v_mov_b32_e32 v2, 0
	v_mov_b32_e32 v13, 0
	;; [unrolled: 1-line block ×7, first 2 shown]
	ds_write2_b32 v24, v1, v1 offset0:2 offset1:3
	ds_write2_b32 v24, v1, v1 offset1:1
	ds_write_b32 v24, v1 offset:16
	s_cbranch_scc1 .LBB26_29
; %bb.2:
	s_load_dwordx8 s[12:19], s[6:7], 0x38
	s_load_dwordx4 s[36:39], s[6:7], 0x20
	s_load_dwordx2 s[26:27], s[6:7], 0x30
	v_and_b32_e32 v2, 63, v17
	v_lshrrev_b32_e32 v29, 4, v2
	s_waitcnt lgkmcnt(0)
	s_mul_i32 s2, s10, s13
	s_mul_hi_u32 s3, s10, s12
	s_mul_i32 s4, s11, s12
	s_add_i32 s2, s3, s2
	s_add_i32 s3, s2, s4
	s_mul_i32 s2, s10, s12
	s_lshl_b64 s[2:3], s[2:3], 3
	s_add_u32 s4, s36, s2
	s_addc_u32 s5, s37, s3
	s_lshl_b64 s[2:3], s[38:39], 3
	s_add_u32 s8, s4, s2
	s_addc_u32 s9, s5, s3
	;; [unrolled: 3-line block ×3, first 2 shown]
	s_load_dwordx2 s[2:3], s[2:3], 0x0
	s_lshl_b64 s[4:5], s[16:17], 3
	v_mov_b32_e32 v3, s9
	s_waitcnt lgkmcnt(0)
	s_add_u32 s2, s2, s4
	s_addc_u32 s3, s3, s5
	s_cmpk_lg_i32 s24, 0x6f
	s_cselect_b64 s[12:13], -1, 0
	s_cmpk_eq_i32 s24, 0x6f
	s_cselect_b32 s4, s26, s27
	v_mul_lo_u32 v0, v18, s4
	s_cmpk_lg_i32 s25, 0x6f
	v_ashrrev_i32_e32 v1, 31, v0
	s_cselect_b64 s[14:15], -1, 0
	s_cmpk_eq_i32 s25, 0x6f
	v_lshlrev_b64 v[0:1], 3, v[0:1]
	s_cselect_b32 s4, s19, s18
	v_add_co_u32_e32 v25, vcc, s8, v0
	v_mul_lo_u32 v0, v19, s4
	v_addc_co_u32_e32 v26, vcc, v3, v1, vcc
	v_ashrrev_i32_e32 v1, 31, v0
	v_lshlrev_b64 v[0:1], 3, v[0:1]
	v_mov_b32_e32 v3, s3
	v_add_co_u32_e32 v27, vcc, s2, v0
	v_addc_co_u32_e32 v28, vcc, v3, v1, vcc
	v_and_b32_e32 v1, 15, v17
	v_mul_lo_u32 v0, v1, s26
	s_cmpk_eq_i32 s24, 0x71
	v_mad_u64_u32 v[4:5], s[30:31], s27, v29, v[0:1]
	v_mul_lo_u32 v0, s26, v22
	s_cselect_b64 s[16:17], -1, 0
	s_cmpk_eq_i32 s25, 0x71
	v_mad_u64_u32 v[6:7], s[34:35], v21, s27, v[0:1]
	v_mul_lo_u32 v0, s18, v22
	v_lshl_or_b32 v3, v1, 2, v29
	v_cmp_lt_i32_e64 s[4:5], v1, v16
	v_cmp_lt_i32_e64 s[8:9], v1, v20
	v_mul_lo_u32 v2, v1, s18
	s_cselect_b64 s[24:25], -1, 0
	s_lshl_b32 s30, s27, 2
	s_lshl_b32 s31, s26, 2
	v_mad_u64_u32 v[8:9], s[26:27], v21, s19, v[0:1]
	v_mbcnt_hi_u32_b32 v1, -1, v23
	v_mov_b32_e32 v0, 0
	v_and_or_b32 v1, v1, 64, v3
	v_cmp_lt_i32_e64 s[2:3], v21, v16
	s_lshl_b32 s33, s18, 2
	v_mad_u64_u32 v[10:11], s[26:27], s19, v29, v[2:3]
	s_lshl_b32 s34, s19, 2
	v_lshlrev_b32_e32 v30, 2, v1
	v_mov_b32_e32 v3, v0
	v_mov_b32_e32 v2, v0
	;; [unrolled: 1-line block ×3, first 2 shown]
	s_branch .LBB26_6
.LBB26_3:                               ;   in Loop: Header=BB26_6 Depth=1
	s_or_b64 exec, exec, s[26:27]
.LBB26_4:                               ;   in Loop: Header=BB26_6 Depth=1
	s_or_b64 exec, exec, s[18:19]
	s_waitcnt vmcnt(0)
	ds_bpermute_b32 v14, v30, v14
	ds_bpermute_b32 v15, v30, v15
.LBB26_5:                               ;   in Loop: Header=BB26_6 Depth=1
	s_waitcnt vmcnt(0) lgkmcnt(0)
	v_cndmask_b32_e64 v7, v13, -v13, s[16:17]
	v_cndmask_b32_e64 v5, v15, -v15, s[24:25]
	v_mfma_f32_16x16x4f32 v[32:35], v12, v14, 0
	s_add_i32 s23, s23, 4
	v_add_u32_e32 v4, s30, v4
	v_add_u32_e32 v6, s31, v6
	;; [unrolled: 1-line block ×3, first 2 shown]
	s_cmp_ge_i32 s23, s20
	v_add_u32_e32 v10, s34, v10
	v_mfma_f32_16x16x4f32 v[40:43], v7, v5, 0
	v_mfma_f32_16x16x4f32 v[36:39], v12, v5, 0
	ds_read2_b32 v[12:13], v24 offset1:1
	ds_read2_b32 v[44:45], v24 offset0:3 offset1:4
	ds_read2_b32 v[46:47], v24 offset0:2 offset1:3
	;; [unrolled: 1-line block ×3, first 2 shown]
	s_nop 5
	v_sub_f32_e32 v35, v35, v43
	v_sub_f32_e32 v34, v34, v42
	;; [unrolled: 1-line block ×4, first 2 shown]
	s_waitcnt lgkmcnt(1)
	v_mov_b32_e32 v13, v46
	v_pk_add_f32 v[12:13], v[12:13], v[32:33]
	v_pk_add_f32 v[0:1], v[0:1], v[34:35]
	v_mfma_f32_16x16x4f32 v[32:35], v7, v14, 0
	s_waitcnt lgkmcnt(0)
	v_mov_b32_e32 v49, v44
	s_nop 7
	s_nop 0
	v_pk_add_f32 v[14:15], v[38:39], v[34:35]
	v_pk_add_f32 v[32:33], v[36:37], v[32:33]
	;; [unrolled: 1-line block ×4, first 2 shown]
	ds_write2_b32 v24, v12, v14 offset1:1
	v_mov_b32_e32 v12, v13
	v_mov_b32_e32 v5, v15
	ds_write2_b32 v24, v13, v15 offset0:2 offset1:3
	ds_write_b32 v24, v0 offset:16
	s_cbranch_scc1 .LBB26_28
.LBB26_6:                               ; =>This Inner Loop Header: Depth=1
	s_and_b64 vcc, exec, s[12:13]
	s_cbranch_vccz .LBB26_18
; %bb.7:                                ;   in Loop: Header=BB26_6 Depth=1
	v_mov_b32_e32 v12, 0
	v_mov_b32_e32 v13, 0
	s_and_saveexec_b64 s[18:19], s[2:3]
	s_cbranch_execz .LBB26_11
; %bb.8:                                ;   in Loop: Header=BB26_6 Depth=1
	v_add_u32_e32 v5, s23, v22
	v_cmp_gt_i32_e32 vcc, s20, v5
	v_mov_b32_e32 v13, 0
	v_mov_b32_e32 v12, 0
	s_and_saveexec_b64 s[26:27], vcc
	s_cbranch_execz .LBB26_10
; %bb.9:                                ;   in Loop: Header=BB26_6 Depth=1
	v_ashrrev_i32_e32 v7, 31, v6
	v_lshlrev_b64 v[12:13], 3, v[6:7]
	v_add_co_u32_e32 v12, vcc, v25, v12
	v_addc_co_u32_e32 v13, vcc, v26, v13, vcc
	global_load_dwordx2 v[12:13], v[12:13], off
.LBB26_10:                              ;   in Loop: Header=BB26_6 Depth=1
	s_or_b64 exec, exec, s[26:27]
.LBB26_11:                              ;   in Loop: Header=BB26_6 Depth=1
	s_or_b64 exec, exec, s[18:19]
	s_waitcnt vmcnt(0)
	ds_bpermute_b32 v12, v30, v12
	ds_bpermute_b32 v13, v30, v13
.LBB26_12:                              ;   in Loop: Header=BB26_6 Depth=1
	s_and_b64 vcc, exec, s[14:15]
	s_cbranch_vccz .LBB26_24
.LBB26_13:                              ;   in Loop: Header=BB26_6 Depth=1
	v_mov_b32_e32 v15, 0
	v_mov_b32_e32 v14, 0
	s_and_saveexec_b64 s[18:19], s[8:9]
	s_cbranch_execz .LBB26_17
; %bb.14:                               ;   in Loop: Header=BB26_6 Depth=1
	v_add_u32_e32 v5, s23, v29
	v_cmp_gt_i32_e32 vcc, s20, v5
	v_mov_b32_e32 v15, 0
	v_mov_b32_e32 v14, 0
	s_and_saveexec_b64 s[26:27], vcc
	s_cbranch_execz .LBB26_16
; %bb.15:                               ;   in Loop: Header=BB26_6 Depth=1
	v_ashrrev_i32_e32 v11, 31, v10
	v_lshlrev_b64 v[14:15], 3, v[10:11]
	v_add_co_u32_e32 v14, vcc, v27, v14
	v_addc_co_u32_e32 v15, vcc, v28, v15, vcc
	global_load_dwordx2 v[14:15], v[14:15], off
.LBB26_16:                              ;   in Loop: Header=BB26_6 Depth=1
	s_or_b64 exec, exec, s[26:27]
.LBB26_17:                              ;   in Loop: Header=BB26_6 Depth=1
	s_or_b64 exec, exec, s[18:19]
	s_cbranch_execnz .LBB26_5
	s_branch .LBB26_25
.LBB26_18:                              ;   in Loop: Header=BB26_6 Depth=1
                                        ; implicit-def: $vgpr13
	s_cbranch_execz .LBB26_12
; %bb.19:                               ;   in Loop: Header=BB26_6 Depth=1
	s_waitcnt lgkmcnt(0)
	v_mov_b32_e32 v13, 0
	v_mov_b32_e32 v12, 0
	s_and_saveexec_b64 s[18:19], s[4:5]
	s_cbranch_execz .LBB26_23
; %bb.20:                               ;   in Loop: Header=BB26_6 Depth=1
	v_add_u32_e32 v5, s23, v29
	v_cmp_gt_i32_e32 vcc, s20, v5
	v_mov_b32_e32 v13, 0
	v_mov_b32_e32 v12, 0
	s_and_saveexec_b64 s[26:27], vcc
	s_cbranch_execz .LBB26_22
; %bb.21:                               ;   in Loop: Header=BB26_6 Depth=1
	v_ashrrev_i32_e32 v5, 31, v4
	v_lshlrev_b64 v[12:13], 3, v[4:5]
	v_add_co_u32_e32 v12, vcc, v25, v12
	v_addc_co_u32_e32 v13, vcc, v26, v13, vcc
	global_load_dwordx2 v[12:13], v[12:13], off
.LBB26_22:                              ;   in Loop: Header=BB26_6 Depth=1
	s_or_b64 exec, exec, s[26:27]
.LBB26_23:                              ;   in Loop: Header=BB26_6 Depth=1
	s_or_b64 exec, exec, s[18:19]
	s_and_b64 vcc, exec, s[14:15]
	s_cbranch_vccnz .LBB26_13
.LBB26_24:                              ;   in Loop: Header=BB26_6 Depth=1
                                        ; implicit-def: $vgpr15
.LBB26_25:                              ;   in Loop: Header=BB26_6 Depth=1
	s_waitcnt vmcnt(0)
	v_mov_b32_e32 v14, 0
	v_mov_b32_e32 v15, 0
	s_and_saveexec_b64 s[18:19], s[0:1]
	s_cbranch_execz .LBB26_4
; %bb.26:                               ;   in Loop: Header=BB26_6 Depth=1
	v_add_u32_e32 v5, s23, v22
	v_cmp_gt_i32_e32 vcc, s20, v5
	v_mov_b32_e32 v15, 0
	v_mov_b32_e32 v14, 0
	s_and_saveexec_b64 s[26:27], vcc
	s_cbranch_execz .LBB26_3
; %bb.27:                               ;   in Loop: Header=BB26_6 Depth=1
	v_ashrrev_i32_e32 v9, 31, v8
	v_lshlrev_b64 v[14:15], 3, v[8:9]
	v_add_co_u32_e32 v14, vcc, v27, v14
	v_addc_co_u32_e32 v15, vcc, v28, v15, vcc
	global_load_dwordx2 v[14:15], v[14:15], off
	s_branch .LBB26_3
.LBB26_28:
	ds_read_b32 v4, v24
.LBB26_29:
	s_load_dwordx8 s[0:7], s[6:7], 0x68
	v_mbcnt_hi_u32_b32 v9, -1, v23
	v_and_b32_e32 v9, 64, v9
	s_waitcnt lgkmcnt(0)
	s_mul_i32 s7, s10, s7
	s_mul_hi_u32 s8, s10, s6
	s_mul_i32 s9, s11, s6
	s_add_i32 s7, s8, s7
	s_mul_i32 s6, s10, s6
	s_add_i32 s7, s7, s9
	s_lshl_b64 s[6:7], s[6:7], 3
	s_add_u32 s6, s0, s6
	s_addc_u32 s7, s1, s7
	s_lshl_b64 s[0:1], s[2:3], 3
	s_add_u32 s2, s6, s0
	v_mul_lo_u32 v6, v18, s4
	s_addc_u32 s3, s7, s1
	v_mad_u64_u32 v[6:7], s[0:1], v19, s5, v[6:7]
	v_ashrrev_i32_e32 v7, 31, v6
	v_lshlrev_b64 v[6:7], 3, v[6:7]
	v_mov_b32_e32 v8, s3
	v_add_co_u32_e32 v5, vcc, s2, v6
	v_addc_co_u32_e32 v6, vcc, v8, v7, vcc
	v_lshlrev_b32_e32 v8, 4, v17
	v_and_b32_e32 v8, 48, v8
	v_or3_b32 v8, v8, v9, v21
	v_lshlrev_b32_e32 v8, 2, v8
	ds_bpermute_b32 v9, v8, v4
	ds_bpermute_b32 v10, v8, v14
	v_lshlrev_b32_e32 v7, 2, v22
	v_cmp_lt_i32_e32 vcc, v21, v20
	v_cmp_lt_i32_e64 s[0:1], v7, v16
	v_mul_lo_u32 v4, v21, s5
	s_and_b64 s[0:1], vcc, s[0:1]
	s_and_saveexec_b64 s[2:3], s[0:1]
	s_cbranch_execz .LBB26_31
; %bb.30:
	v_mad_u64_u32 v[18:19], s[0:1], v7, s4, v[4:5]
	v_ashrrev_i32_e32 v19, 31, v18
	v_lshlrev_b64 v[18:19], 3, v[18:19]
	v_add_co_u32_e64 v18, s[0:1], v5, v18
	v_addc_co_u32_e64 v19, s[0:1], v6, v19, s[0:1]
	global_load_dwordx2 v[20:21], v[18:19], off
	s_waitcnt lgkmcnt(0)
	v_mul_f32_e32 v11, s22, v10
	v_mul_f32_e32 v12, s22, v9
	v_fma_f32 v9, s21, v9, -v11
	v_fmac_f32_e32 v12, s21, v10
	s_waitcnt vmcnt(0)
	v_mul_f32_e32 v10, s29, v21
	v_mul_f32_e32 v11, s28, v21
	v_fma_f32 v10, s28, v20, -v10
	v_fmac_f32_e32 v11, s29, v20
	v_add_f32_e32 v10, v9, v10
	v_add_f32_e32 v11, v12, v11
	global_store_dwordx2 v[18:19], v[10:11], off
.LBB26_31:
	s_or_b64 exec, exec, s[2:3]
	s_waitcnt lgkmcnt(1)
	ds_bpermute_b32 v9, v8, v13
	s_waitcnt lgkmcnt(1)
	ds_bpermute_b32 v10, v8, v15
	v_or_b32_e32 v11, 1, v7
	v_cmp_lt_i32_e64 s[0:1], v11, v16
	s_and_b64 s[0:1], vcc, s[0:1]
	s_and_saveexec_b64 s[2:3], s[0:1]
	s_cbranch_execz .LBB26_33
; %bb.32:
	v_mad_u64_u32 v[12:13], s[0:1], v11, s4, v[4:5]
	v_ashrrev_i32_e32 v13, 31, v12
	v_lshlrev_b64 v[12:13], 3, v[12:13]
	v_add_co_u32_e64 v12, s[0:1], v5, v12
	v_addc_co_u32_e64 v13, s[0:1], v6, v13, s[0:1]
	global_load_dwordx2 v[14:15], v[12:13], off
	s_waitcnt lgkmcnt(0)
	v_mul_f32_e32 v11, s22, v10
	v_mul_f32_e32 v17, s21, v10
	v_fma_f32 v10, s21, v9, -v11
	v_fmac_f32_e32 v17, s22, v9
	s_waitcnt vmcnt(0)
	v_mul_f32_e32 v9, s29, v15
	v_mul_f32_e32 v11, s28, v15
	v_fma_f32 v9, s28, v14, -v9
	v_fmac_f32_e32 v11, s29, v14
	v_add_f32_e32 v10, v10, v9
	v_add_f32_e32 v11, v17, v11
	global_store_dwordx2 v[12:13], v[10:11], off
.LBB26_33:
	s_or_b64 exec, exec, s[2:3]
	ds_bpermute_b32 v0, v8, v0
	ds_bpermute_b32 v2, v8, v2
	s_waitcnt lgkmcnt(3)
	v_or_b32_e32 v9, 2, v7
	v_cmp_lt_i32_e64 s[0:1], v9, v16
	s_and_b64 s[0:1], vcc, s[0:1]
	s_and_saveexec_b64 s[2:3], s[0:1]
	s_cbranch_execz .LBB26_35
; %bb.34:
	s_waitcnt lgkmcnt(2)
	v_mad_u64_u32 v[10:11], s[0:1], v9, s4, v[4:5]
	v_ashrrev_i32_e32 v11, 31, v10
	v_lshlrev_b64 v[10:11], 3, v[10:11]
	v_add_co_u32_e64 v10, s[0:1], v5, v10
	v_addc_co_u32_e64 v11, s[0:1], v6, v11, s[0:1]
	global_load_dwordx2 v[12:13], v[10:11], off
	s_waitcnt lgkmcnt(0)
	v_mul_f32_e32 v9, s22, v2
	v_mul_f32_e32 v2, s21, v2
	v_fma_f32 v9, s21, v0, -v9
	v_fmac_f32_e32 v2, s22, v0
	s_waitcnt vmcnt(0)
	v_mul_f32_e32 v0, s29, v13
	v_mul_f32_e32 v13, s28, v13
	v_fma_f32 v0, s28, v12, -v0
	v_fmac_f32_e32 v13, s29, v12
	v_add_f32_e32 v12, v9, v0
	v_add_f32_e32 v13, v2, v13
	global_store_dwordx2 v[10:11], v[12:13], off
.LBB26_35:
	s_or_b64 exec, exec, s[2:3]
	s_waitcnt lgkmcnt(1)
	ds_bpermute_b32 v0, v8, v1
	ds_bpermute_b32 v1, v8, v3
	s_waitcnt lgkmcnt(2)
	v_or_b32_e32 v2, 3, v7
	v_cmp_lt_i32_e64 s[0:1], v2, v16
	s_and_b64 s[0:1], vcc, s[0:1]
	s_and_b64 exec, exec, s[0:1]
	s_cbranch_execz .LBB26_37
; %bb.36:
	v_mad_u64_u32 v[2:3], s[0:1], v2, s4, v[4:5]
	v_ashrrev_i32_e32 v3, 31, v2
	v_lshlrev_b64 v[2:3], 3, v[2:3]
	v_add_co_u32_e32 v2, vcc, v5, v2
	v_addc_co_u32_e32 v3, vcc, v6, v3, vcc
	global_load_dwordx2 v[4:5], v[2:3], off
	s_waitcnt lgkmcnt(0)
	v_mul_f32_e32 v6, s22, v1
	v_mul_f32_e32 v1, s21, v1
	v_fma_f32 v6, s21, v0, -v6
	v_fmac_f32_e32 v1, s22, v0
	s_waitcnt vmcnt(0)
	v_mul_f32_e32 v0, s29, v5
	v_mul_f32_e32 v5, s28, v5
	v_fma_f32 v0, s28, v4, -v0
	v_fmac_f32_e32 v5, s29, v4
	v_add_f32_e32 v0, v6, v0
	v_add_f32_e32 v1, v1, v5
	global_store_dwordx2 v[2:3], v[0:1], off
.LBB26_37:
	s_endpgm
	.section	.rodata,"a",@progbits
	.p2align	6, 0x0
	.amdhsa_kernel _ZN9rocsolver6v33100L16mfma_gemm_kernelI19rocblas_complex_numIfEiS3_PS3_PKS4_S4_EEv18rocblas_operation_S7_T0_S8_S8_T1_T2_lS8_S8_lT3_lS8_S8_lS9_T4_lS8_S8_l
		.amdhsa_group_segment_fixed_size 20480
		.amdhsa_private_segment_fixed_size 0
		.amdhsa_kernarg_size 392
		.amdhsa_user_sgpr_count 8
		.amdhsa_user_sgpr_private_segment_buffer 1
		.amdhsa_user_sgpr_dispatch_ptr 1
		.amdhsa_user_sgpr_queue_ptr 0
		.amdhsa_user_sgpr_kernarg_segment_ptr 1
		.amdhsa_user_sgpr_dispatch_id 0
		.amdhsa_user_sgpr_flat_scratch_init 0
		.amdhsa_user_sgpr_kernarg_preload_length 0
		.amdhsa_user_sgpr_kernarg_preload_offset 0
		.amdhsa_user_sgpr_private_segment_size 0
		.amdhsa_uses_dynamic_stack 0
		.amdhsa_system_sgpr_private_segment_wavefront_offset 0
		.amdhsa_system_sgpr_workgroup_id_x 1
		.amdhsa_system_sgpr_workgroup_id_y 1
		.amdhsa_system_sgpr_workgroup_id_z 1
		.amdhsa_system_sgpr_workgroup_info 0
		.amdhsa_system_vgpr_workitem_id 2
		.amdhsa_next_free_vgpr 50
		.amdhsa_next_free_sgpr 40
		.amdhsa_accum_offset 52
		.amdhsa_reserve_vcc 1
		.amdhsa_reserve_flat_scratch 0
		.amdhsa_float_round_mode_32 0
		.amdhsa_float_round_mode_16_64 0
		.amdhsa_float_denorm_mode_32 3
		.amdhsa_float_denorm_mode_16_64 3
		.amdhsa_dx10_clamp 1
		.amdhsa_ieee_mode 1
		.amdhsa_fp16_overflow 0
		.amdhsa_tg_split 0
		.amdhsa_exception_fp_ieee_invalid_op 0
		.amdhsa_exception_fp_denorm_src 0
		.amdhsa_exception_fp_ieee_div_zero 0
		.amdhsa_exception_fp_ieee_overflow 0
		.amdhsa_exception_fp_ieee_underflow 0
		.amdhsa_exception_fp_ieee_inexact 0
		.amdhsa_exception_int_div_zero 0
	.end_amdhsa_kernel
	.section	.text._ZN9rocsolver6v33100L16mfma_gemm_kernelI19rocblas_complex_numIfEiS3_PS3_PKS4_S4_EEv18rocblas_operation_S7_T0_S8_S8_T1_T2_lS8_S8_lT3_lS8_S8_lS9_T4_lS8_S8_l,"axG",@progbits,_ZN9rocsolver6v33100L16mfma_gemm_kernelI19rocblas_complex_numIfEiS3_PS3_PKS4_S4_EEv18rocblas_operation_S7_T0_S8_S8_T1_T2_lS8_S8_lT3_lS8_S8_lS9_T4_lS8_S8_l,comdat
.Lfunc_end26:
	.size	_ZN9rocsolver6v33100L16mfma_gemm_kernelI19rocblas_complex_numIfEiS3_PS3_PKS4_S4_EEv18rocblas_operation_S7_T0_S8_S8_T1_T2_lS8_S8_lT3_lS8_S8_lS9_T4_lS8_S8_l, .Lfunc_end26-_ZN9rocsolver6v33100L16mfma_gemm_kernelI19rocblas_complex_numIfEiS3_PS3_PKS4_S4_EEv18rocblas_operation_S7_T0_S8_S8_T1_T2_lS8_S8_lT3_lS8_S8_lS9_T4_lS8_S8_l
                                        ; -- End function
	.section	.AMDGPU.csdata,"",@progbits
; Kernel info:
; codeLenInByte = 2136
; NumSgprs: 44
; NumVgprs: 50
; NumAgprs: 0
; TotalNumVgprs: 50
; ScratchSize: 0
; MemoryBound: 0
; FloatMode: 240
; IeeeMode: 1
; LDSByteSize: 20480 bytes/workgroup (compile time only)
; SGPRBlocks: 5
; VGPRBlocks: 6
; NumSGPRsForWavesPerEU: 44
; NumVGPRsForWavesPerEU: 50
; AccumOffset: 52
; Occupancy: 8
; WaveLimiterHint : 1
; COMPUTE_PGM_RSRC2:SCRATCH_EN: 0
; COMPUTE_PGM_RSRC2:USER_SGPR: 8
; COMPUTE_PGM_RSRC2:TRAP_HANDLER: 0
; COMPUTE_PGM_RSRC2:TGID_X_EN: 1
; COMPUTE_PGM_RSRC2:TGID_Y_EN: 1
; COMPUTE_PGM_RSRC2:TGID_Z_EN: 1
; COMPUTE_PGM_RSRC2:TIDIG_COMP_CNT: 2
; COMPUTE_PGM_RSRC3_GFX90A:ACCUM_OFFSET: 12
; COMPUTE_PGM_RSRC3_GFX90A:TG_SPLIT: 0
	.section	.text._ZN9rocsolver6v33100L11gemm_kernelI19rocblas_complex_numIfEiPKS3_PS3_PKS6_S6_EEvT0_S9_S9_T1_bT2_lS9_S9_lbT3_lS9_S9_lSA_T4_lS9_S9_l,"axG",@progbits,_ZN9rocsolver6v33100L11gemm_kernelI19rocblas_complex_numIfEiPKS3_PS3_PKS6_S6_EEvT0_S9_S9_T1_bT2_lS9_S9_lbT3_lS9_S9_lSA_T4_lS9_S9_l,comdat
	.globl	_ZN9rocsolver6v33100L11gemm_kernelI19rocblas_complex_numIfEiPKS3_PS3_PKS6_S6_EEvT0_S9_S9_T1_bT2_lS9_S9_lbT3_lS9_S9_lSA_T4_lS9_S9_l ; -- Begin function _ZN9rocsolver6v33100L11gemm_kernelI19rocblas_complex_numIfEiPKS3_PS3_PKS6_S6_EEvT0_S9_S9_T1_bT2_lS9_S9_lbT3_lS9_S9_lSA_T4_lS9_S9_l
	.p2align	8
	.type	_ZN9rocsolver6v33100L11gemm_kernelI19rocblas_complex_numIfEiPKS3_PS3_PKS6_S6_EEvT0_S9_S9_T1_bT2_lS9_S9_lbT3_lS9_S9_lSA_T4_lS9_S9_l,@function
_ZN9rocsolver6v33100L11gemm_kernelI19rocblas_complex_numIfEiPKS3_PS3_PKS6_S6_EEvT0_S9_S9_T1_bT2_lS9_S9_lbT3_lS9_S9_lSA_T4_lS9_S9_l: ; @_ZN9rocsolver6v33100L11gemm_kernelI19rocblas_complex_numIfEiPKS3_PS3_PKS6_S6_EEvT0_S9_S9_T1_bT2_lS9_S9_lbT3_lS9_S9_lSA_T4_lS9_S9_l
; %bb.0:
	s_load_dword s0, s[4:5], 0x9c
	s_load_dwordx4 s[20:23], s[4:5], 0x0
	v_and_b32_e32 v1, 0x3ff, v0
	v_bfe_u32 v0, v0, 10, 10
	s_waitcnt lgkmcnt(0)
	s_lshr_b32 s1, s0, 16
	s_and_b32 s0, s0, 0xffff
	s_mul_i32 s6, s6, s0
	s_mul_i32 s7, s7, s1
	v_add_u32_e32 v8, s6, v1
	v_add_u32_e32 v9, s7, v0
	v_cmp_gt_i32_e32 vcc, s20, v8
	v_cmp_gt_i32_e64 s[0:1], s21, v9
	s_and_b64 s[0:1], vcc, s[0:1]
	s_and_saveexec_b64 s[2:3], s[0:1]
	s_cbranch_execz .LBB27_9
; %bb.1:
	s_load_dwordx2 s[12:13], s[4:5], 0x10
	s_load_dwordx4 s[0:3], s[4:5], 0x68
	s_load_dwordx2 s[20:21], s[4:5], 0x78
	s_ashr_i32 s9, s8, 31
	s_cmp_lt_i32 s22, 1
	v_mov_b32_e32 v10, 0
	s_waitcnt lgkmcnt(0)
	s_load_dwordx2 s[10:11], s[12:13], 0x0
	s_load_dwordx2 s[6:7], s[0:1], 0x0
	v_mov_b32_e32 v11, 0
	s_cbranch_scc1 .LBB27_8
; %bb.2:
	s_load_dwordx4 s[28:31], s[4:5], 0x48
	s_load_dword s23, s[4:5], 0x40
	s_load_dword s24, s[4:5], 0x18
	s_load_dwordx8 s[12:19], s[4:5], 0x20
	s_lshl_b64 s[0:1], s[8:9], 3
	s_waitcnt lgkmcnt(0)
	s_add_u32 s0, s28, s0
	s_addc_u32 s1, s29, s1
	s_bitcmp1_b32 s24, 0
	s_load_dwordx2 s[28:29], s[0:1], 0x0
	s_cselect_b64 s[0:1], -1, 0
	s_xor_b64 s[0:1], s[0:1], -1
	s_bitcmp1_b32 s23, 0
	s_mul_i32 s19, s8, s19
	s_mul_hi_u32 s23, s8, s18
	s_cselect_b64 s[24:25], -1, 0
	s_add_i32 s19, s23, s19
	s_mul_i32 s23, s9, s18
	s_add_i32 s19, s19, s23
	s_mul_i32 s18, s8, s18
	s_lshl_b64 s[18:19], s[18:19], 3
	s_add_u32 s18, s12, s18
	s_load_dwordx2 s[26:27], s[4:5], 0x58
	s_addc_u32 s19, s13, s19
	s_lshl_b64 s[12:13], s[14:15], 3
	s_add_u32 s14, s18, s12
	s_addc_u32 s18, s19, s13
	s_lshl_b64 s[12:13], s[30:31], 3
	s_waitcnt lgkmcnt(0)
	s_add_u32 s15, s28, s12
	s_addc_u32 s12, s29, s13
	v_mul_lo_u32 v0, v8, s16
	v_mul_lo_u32 v2, v9, s27
	v_mov_b32_e32 v10, 0
	v_mov_b32_e32 v12, s18
	;; [unrolled: 1-line block ×4, first 2 shown]
	s_branch .LBB27_4
.LBB27_3:                               ;   in Loop: Header=BB27_4 Depth=1
	v_ashrrev_i32_e32 v3, 31, v2
	v_lshlrev_b64 v[6:7], 3, v[2:3]
	v_add_co_u32_e32 v6, vcc, s15, v6
	v_addc_co_u32_e32 v7, vcc, v13, v7, vcc
	global_load_dwordx2 v[6:7], v[6:7], off
	s_add_i32 s22, s22, -1
	v_add_u32_e32 v2, s26, v2
	s_cmp_eq_u32 s22, 0
	v_add_u32_e32 v0, s17, v0
	s_waitcnt vmcnt(0)
	v_cndmask_b32_e64 v1, v7, -v7, s[24:25]
	v_mul_f32_e32 v3, v6, v5
	v_mul_f32_e32 v5, v1, v5
	v_fmac_f32_e32 v3, v1, v4
	v_fma_f32 v1, v6, v4, -v5
	v_add_f32_e32 v10, v10, v3
	v_add_f32_e32 v11, v11, v1
	s_cbranch_scc1 .LBB27_8
.LBB27_4:                               ; =>This Inner Loop Header: Depth=1
	v_ashrrev_i32_e32 v1, 31, v0
	v_lshlrev_b64 v[4:5], 3, v[0:1]
	v_add_co_u32_e32 v6, vcc, s14, v4
	v_addc_co_u32_e32 v7, vcc, v12, v5, vcc
	s_and_b64 vcc, exec, s[0:1]
	s_cbranch_vccz .LBB27_6
; %bb.5:                                ;   in Loop: Header=BB27_4 Depth=1
	global_load_dwordx2 v[4:5], v[6:7], off
	s_cbranch_execnz .LBB27_3
	s_branch .LBB27_7
.LBB27_6:                               ;   in Loop: Header=BB27_4 Depth=1
                                        ; implicit-def: $vgpr5
.LBB27_7:                               ;   in Loop: Header=BB27_4 Depth=1
	global_load_dwordx2 v[4:5], v[6:7], off
	s_waitcnt vmcnt(0)
	v_xor_b32_e32 v5, 0x80000000, v5
	s_branch .LBB27_3
.LBB27_8:
	s_load_dwordx4 s[12:15], s[4:5], 0x80
	s_waitcnt lgkmcnt(0)
	v_mul_f32_e32 v4, s11, v10
	v_mul_f32_e32 v5, s10, v10
	v_fma_f32 v4, s10, v11, -v4
	v_fmac_f32_e32 v5, s11, v11
	s_mul_i32 s1, s8, s15
	s_mul_hi_u32 s4, s8, s14
	s_mul_i32 s5, s9, s14
	s_add_i32 s1, s4, s1
	s_mul_i32 s0, s8, s14
	s_add_i32 s1, s1, s5
	s_lshl_b64 s[0:1], s[0:1], 3
	s_add_u32 s2, s2, s0
	s_addc_u32 s3, s3, s1
	s_lshl_b64 s[0:1], s[20:21], 3
	s_add_u32 s2, s2, s0
	v_mul_lo_u32 v0, v8, s12
	s_addc_u32 s3, s3, s1
	v_mad_u64_u32 v[0:1], s[0:1], v9, s13, v[0:1]
	v_ashrrev_i32_e32 v1, 31, v0
	v_lshlrev_b64 v[0:1], 3, v[0:1]
	v_mov_b32_e32 v2, s3
	v_add_co_u32_e32 v0, vcc, s2, v0
	v_addc_co_u32_e32 v1, vcc, v2, v1, vcc
	global_load_dwordx2 v[2:3], v[0:1], off
	s_waitcnt vmcnt(0)
	v_mul_f32_e32 v6, s7, v3
	v_mul_f32_e32 v3, s6, v3
	v_fma_f32 v6, s6, v2, -v6
	v_fmac_f32_e32 v3, s7, v2
	v_add_f32_e32 v2, v4, v6
	v_add_f32_e32 v3, v5, v3
	global_store_dwordx2 v[0:1], v[2:3], off
.LBB27_9:
	s_endpgm
	.section	.rodata,"a",@progbits
	.p2align	6, 0x0
	.amdhsa_kernel _ZN9rocsolver6v33100L11gemm_kernelI19rocblas_complex_numIfEiPKS3_PS3_PKS6_S6_EEvT0_S9_S9_T1_bT2_lS9_S9_lbT3_lS9_S9_lSA_T4_lS9_S9_l
		.amdhsa_group_segment_fixed_size 0
		.amdhsa_private_segment_fixed_size 0
		.amdhsa_kernarg_size 400
		.amdhsa_user_sgpr_count 6
		.amdhsa_user_sgpr_private_segment_buffer 1
		.amdhsa_user_sgpr_dispatch_ptr 0
		.amdhsa_user_sgpr_queue_ptr 0
		.amdhsa_user_sgpr_kernarg_segment_ptr 1
		.amdhsa_user_sgpr_dispatch_id 0
		.amdhsa_user_sgpr_flat_scratch_init 0
		.amdhsa_user_sgpr_kernarg_preload_length 0
		.amdhsa_user_sgpr_kernarg_preload_offset 0
		.amdhsa_user_sgpr_private_segment_size 0
		.amdhsa_uses_dynamic_stack 0
		.amdhsa_system_sgpr_private_segment_wavefront_offset 0
		.amdhsa_system_sgpr_workgroup_id_x 1
		.amdhsa_system_sgpr_workgroup_id_y 1
		.amdhsa_system_sgpr_workgroup_id_z 1
		.amdhsa_system_sgpr_workgroup_info 0
		.amdhsa_system_vgpr_workitem_id 1
		.amdhsa_next_free_vgpr 14
		.amdhsa_next_free_sgpr 32
		.amdhsa_accum_offset 16
		.amdhsa_reserve_vcc 1
		.amdhsa_reserve_flat_scratch 0
		.amdhsa_float_round_mode_32 0
		.amdhsa_float_round_mode_16_64 0
		.amdhsa_float_denorm_mode_32 3
		.amdhsa_float_denorm_mode_16_64 3
		.amdhsa_dx10_clamp 1
		.amdhsa_ieee_mode 1
		.amdhsa_fp16_overflow 0
		.amdhsa_tg_split 0
		.amdhsa_exception_fp_ieee_invalid_op 0
		.amdhsa_exception_fp_denorm_src 0
		.amdhsa_exception_fp_ieee_div_zero 0
		.amdhsa_exception_fp_ieee_overflow 0
		.amdhsa_exception_fp_ieee_underflow 0
		.amdhsa_exception_fp_ieee_inexact 0
		.amdhsa_exception_int_div_zero 0
	.end_amdhsa_kernel
	.section	.text._ZN9rocsolver6v33100L11gemm_kernelI19rocblas_complex_numIfEiPKS3_PS3_PKS6_S6_EEvT0_S9_S9_T1_bT2_lS9_S9_lbT3_lS9_S9_lSA_T4_lS9_S9_l,"axG",@progbits,_ZN9rocsolver6v33100L11gemm_kernelI19rocblas_complex_numIfEiPKS3_PS3_PKS6_S6_EEvT0_S9_S9_T1_bT2_lS9_S9_lbT3_lS9_S9_lSA_T4_lS9_S9_l,comdat
.Lfunc_end27:
	.size	_ZN9rocsolver6v33100L11gemm_kernelI19rocblas_complex_numIfEiPKS3_PS3_PKS6_S6_EEvT0_S9_S9_T1_bT2_lS9_S9_lbT3_lS9_S9_lSA_T4_lS9_S9_l, .Lfunc_end27-_ZN9rocsolver6v33100L11gemm_kernelI19rocblas_complex_numIfEiPKS3_PS3_PKS6_S6_EEvT0_S9_S9_T1_bT2_lS9_S9_lbT3_lS9_S9_lSA_T4_lS9_S9_l
                                        ; -- End function
	.section	.AMDGPU.csdata,"",@progbits
; Kernel info:
; codeLenInByte = 664
; NumSgprs: 36
; NumVgprs: 14
; NumAgprs: 0
; TotalNumVgprs: 14
; ScratchSize: 0
; MemoryBound: 0
; FloatMode: 240
; IeeeMode: 1
; LDSByteSize: 0 bytes/workgroup (compile time only)
; SGPRBlocks: 4
; VGPRBlocks: 1
; NumSGPRsForWavesPerEU: 36
; NumVGPRsForWavesPerEU: 14
; AccumOffset: 16
; Occupancy: 8
; WaveLimiterHint : 1
; COMPUTE_PGM_RSRC2:SCRATCH_EN: 0
; COMPUTE_PGM_RSRC2:USER_SGPR: 6
; COMPUTE_PGM_RSRC2:TRAP_HANDLER: 0
; COMPUTE_PGM_RSRC2:TGID_X_EN: 1
; COMPUTE_PGM_RSRC2:TGID_Y_EN: 1
; COMPUTE_PGM_RSRC2:TGID_Z_EN: 1
; COMPUTE_PGM_RSRC2:TIDIG_COMP_CNT: 1
; COMPUTE_PGM_RSRC3_GFX90A:ACCUM_OFFSET: 3
; COMPUTE_PGM_RSRC3_GFX90A:TG_SPLIT: 0
	.section	.text._ZN9rocsolver6v33100L11gemm_kernelI19rocblas_complex_numIfEiS3_PS3_PKS4_S4_EEvT0_S7_S7_T1_bT2_lS7_S7_lbT3_lS7_S7_lS8_T4_lS7_S7_l,"axG",@progbits,_ZN9rocsolver6v33100L11gemm_kernelI19rocblas_complex_numIfEiS3_PS3_PKS4_S4_EEvT0_S7_S7_T1_bT2_lS7_S7_lbT3_lS7_S7_lS8_T4_lS7_S7_l,comdat
	.globl	_ZN9rocsolver6v33100L11gemm_kernelI19rocblas_complex_numIfEiS3_PS3_PKS4_S4_EEvT0_S7_S7_T1_bT2_lS7_S7_lbT3_lS7_S7_lS8_T4_lS7_S7_l ; -- Begin function _ZN9rocsolver6v33100L11gemm_kernelI19rocblas_complex_numIfEiS3_PS3_PKS4_S4_EEvT0_S7_S7_T1_bT2_lS7_S7_lbT3_lS7_S7_lS8_T4_lS7_S7_l
	.p2align	8
	.type	_ZN9rocsolver6v33100L11gemm_kernelI19rocblas_complex_numIfEiS3_PS3_PKS4_S4_EEvT0_S7_S7_T1_bT2_lS7_S7_lbT3_lS7_S7_lS8_T4_lS7_S7_l,@function
_ZN9rocsolver6v33100L11gemm_kernelI19rocblas_complex_numIfEiS3_PS3_PKS4_S4_EEvT0_S7_S7_T1_bT2_lS7_S7_lbT3_lS7_S7_lS8_T4_lS7_S7_l: ; @_ZN9rocsolver6v33100L11gemm_kernelI19rocblas_complex_numIfEiS3_PS3_PKS4_S4_EEvT0_S7_S7_T1_bT2_lS7_S7_lbT3_lS7_S7_lS8_T4_lS7_S7_l
; %bb.0:
	s_load_dword s9, s[4:5], 0x94
	s_load_dwordx4 s[0:3], s[4:5], 0x0
	v_and_b32_e32 v1, 0x3ff, v0
	v_bfe_u32 v0, v0, 10, 10
	s_waitcnt lgkmcnt(0)
	s_lshr_b32 s10, s9, 16
	s_and_b32 s9, s9, 0xffff
	s_mul_i32 s6, s6, s9
	s_mul_i32 s7, s7, s10
	v_add_u32_e32 v8, s6, v1
	v_add_u32_e32 v9, s7, v0
	v_cmp_gt_i32_e32 vcc, s0, v8
	v_cmp_gt_i32_e64 s[0:1], s1, v9
	s_and_b64 s[0:1], vcc, s[0:1]
	s_and_saveexec_b64 s[6:7], s[0:1]
	s_cbranch_execz .LBB28_9
; %bb.1:
	s_load_dwordx2 s[6:7], s[4:5], 0x10
	s_load_dwordx2 s[0:1], s[4:5], 0x60
	s_ashr_i32 s9, s8, 31
	s_cmp_lt_i32 s2, 1
	v_mov_b32_e32 v10, 0
	v_mov_b32_e32 v11, 0
	s_cbranch_scc1 .LBB28_8
; %bb.2:
	s_load_dwordx4 s[24:27], s[4:5], 0x40
	s_load_dword s22, s[4:5], 0x38
	s_load_dwordx8 s[12:19], s[4:5], 0x18
	s_load_dwordx2 s[10:11], s[4:5], 0x50
	s_lshl_b64 s[20:21], s[8:9], 3
	s_waitcnt lgkmcnt(0)
	s_add_u32 s20, s24, s20
	s_addc_u32 s21, s25, s21
	s_bitcmp1_b32 s7, 0
	s_load_dwordx2 s[24:25], s[20:21], 0x0
	s_cselect_b64 s[20:21], -1, 0
	s_xor_b64 s[20:21], s[20:21], -1
	s_bitcmp1_b32 s22, 0
	s_mul_i32 s7, s8, s19
	s_mul_hi_u32 s19, s8, s18
	s_cselect_b64 s[22:23], -1, 0
	s_add_i32 s7, s19, s7
	s_mul_i32 s19, s9, s18
	s_add_i32 s19, s7, s19
	s_mul_i32 s18, s8, s18
	s_lshl_b64 s[18:19], s[18:19], 3
	s_add_u32 s7, s12, s18
	s_addc_u32 s18, s13, s19
	s_lshl_b64 s[12:13], s[14:15], 3
	s_add_u32 s7, s7, s12
	s_addc_u32 s15, s18, s13
	s_lshl_b64 s[12:13], s[26:27], 3
	s_waitcnt lgkmcnt(0)
	s_add_u32 s14, s24, s12
	s_addc_u32 s12, s25, s13
	v_mul_lo_u32 v0, v8, s16
	v_mul_lo_u32 v2, v9, s11
	v_mov_b32_e32 v10, 0
	v_mov_b32_e32 v12, s15
	;; [unrolled: 1-line block ×4, first 2 shown]
	s_branch .LBB28_4
.LBB28_3:                               ;   in Loop: Header=BB28_4 Depth=1
	v_ashrrev_i32_e32 v3, 31, v2
	v_lshlrev_b64 v[6:7], 3, v[2:3]
	v_add_co_u32_e32 v6, vcc, s14, v6
	v_addc_co_u32_e32 v7, vcc, v13, v7, vcc
	global_load_dwordx2 v[6:7], v[6:7], off
	s_add_i32 s2, s2, -1
	v_add_u32_e32 v2, s10, v2
	s_cmp_eq_u32 s2, 0
	v_add_u32_e32 v0, s17, v0
	s_waitcnt vmcnt(0)
	v_cndmask_b32_e64 v1, v7, -v7, s[22:23]
	v_mul_f32_e32 v3, v6, v5
	v_mul_f32_e32 v5, v1, v5
	v_fmac_f32_e32 v3, v1, v4
	v_fma_f32 v1, v6, v4, -v5
	v_add_f32_e32 v10, v10, v3
	v_add_f32_e32 v11, v11, v1
	s_cbranch_scc1 .LBB28_8
.LBB28_4:                               ; =>This Inner Loop Header: Depth=1
	v_ashrrev_i32_e32 v1, 31, v0
	v_lshlrev_b64 v[4:5], 3, v[0:1]
	v_add_co_u32_e32 v6, vcc, s7, v4
	v_addc_co_u32_e32 v7, vcc, v12, v5, vcc
	s_and_b64 vcc, exec, s[20:21]
	s_cbranch_vccz .LBB28_6
; %bb.5:                                ;   in Loop: Header=BB28_4 Depth=1
	global_load_dwordx2 v[4:5], v[6:7], off
	s_cbranch_execnz .LBB28_3
	s_branch .LBB28_7
.LBB28_6:                               ;   in Loop: Header=BB28_4 Depth=1
                                        ; implicit-def: $vgpr5
.LBB28_7:                               ;   in Loop: Header=BB28_4 Depth=1
	global_load_dwordx2 v[4:5], v[6:7], off
	s_waitcnt vmcnt(0)
	v_xor_b32_e32 v5, 0x80000000, v5
	s_branch .LBB28_3
.LBB28_8:
	s_load_dwordx8 s[12:19], s[4:5], 0x68
	s_waitcnt lgkmcnt(0)
	v_mul_f32_e32 v4, s6, v10
	v_mul_f32_e32 v5, s3, v10
	v_fma_f32 v4, s3, v11, -v4
	v_fmac_f32_e32 v5, s6, v11
	s_mul_i32 s2, s8, s19
	s_mul_hi_u32 s5, s8, s18
	s_mul_i32 s7, s9, s18
	s_add_i32 s2, s5, s2
	s_mul_i32 s4, s8, s18
	s_add_i32 s5, s2, s7
	s_lshl_b64 s[4:5], s[4:5], 3
	s_add_u32 s2, s12, s4
	s_addc_u32 s7, s13, s5
	s_lshl_b64 s[4:5], s[14:15], 3
	s_add_u32 s2, s2, s4
	v_mul_lo_u32 v0, v8, s16
	s_addc_u32 s7, s7, s5
	v_mad_u64_u32 v[0:1], s[4:5], v9, s17, v[0:1]
	v_ashrrev_i32_e32 v1, 31, v0
	v_lshlrev_b64 v[0:1], 3, v[0:1]
	v_mov_b32_e32 v2, s7
	v_add_co_u32_e32 v0, vcc, s2, v0
	v_addc_co_u32_e32 v1, vcc, v2, v1, vcc
	global_load_dwordx2 v[2:3], v[0:1], off
	s_waitcnt vmcnt(0)
	v_mul_f32_e32 v6, s1, v3
	v_mul_f32_e32 v3, s0, v3
	v_fma_f32 v6, s0, v2, -v6
	v_fmac_f32_e32 v3, s1, v2
	v_add_f32_e32 v2, v4, v6
	v_add_f32_e32 v3, v5, v3
	global_store_dwordx2 v[0:1], v[2:3], off
.LBB28_9:
	s_endpgm
	.section	.rodata,"a",@progbits
	.p2align	6, 0x0
	.amdhsa_kernel _ZN9rocsolver6v33100L11gemm_kernelI19rocblas_complex_numIfEiS3_PS3_PKS4_S4_EEvT0_S7_S7_T1_bT2_lS7_S7_lbT3_lS7_S7_lS8_T4_lS7_S7_l
		.amdhsa_group_segment_fixed_size 0
		.amdhsa_private_segment_fixed_size 0
		.amdhsa_kernarg_size 392
		.amdhsa_user_sgpr_count 6
		.amdhsa_user_sgpr_private_segment_buffer 1
		.amdhsa_user_sgpr_dispatch_ptr 0
		.amdhsa_user_sgpr_queue_ptr 0
		.amdhsa_user_sgpr_kernarg_segment_ptr 1
		.amdhsa_user_sgpr_dispatch_id 0
		.amdhsa_user_sgpr_flat_scratch_init 0
		.amdhsa_user_sgpr_kernarg_preload_length 0
		.amdhsa_user_sgpr_kernarg_preload_offset 0
		.amdhsa_user_sgpr_private_segment_size 0
		.amdhsa_uses_dynamic_stack 0
		.amdhsa_system_sgpr_private_segment_wavefront_offset 0
		.amdhsa_system_sgpr_workgroup_id_x 1
		.amdhsa_system_sgpr_workgroup_id_y 1
		.amdhsa_system_sgpr_workgroup_id_z 1
		.amdhsa_system_sgpr_workgroup_info 0
		.amdhsa_system_vgpr_workitem_id 1
		.amdhsa_next_free_vgpr 14
		.amdhsa_next_free_sgpr 28
		.amdhsa_accum_offset 16
		.amdhsa_reserve_vcc 1
		.amdhsa_reserve_flat_scratch 0
		.amdhsa_float_round_mode_32 0
		.amdhsa_float_round_mode_16_64 0
		.amdhsa_float_denorm_mode_32 3
		.amdhsa_float_denorm_mode_16_64 3
		.amdhsa_dx10_clamp 1
		.amdhsa_ieee_mode 1
		.amdhsa_fp16_overflow 0
		.amdhsa_tg_split 0
		.amdhsa_exception_fp_ieee_invalid_op 0
		.amdhsa_exception_fp_denorm_src 0
		.amdhsa_exception_fp_ieee_div_zero 0
		.amdhsa_exception_fp_ieee_overflow 0
		.amdhsa_exception_fp_ieee_underflow 0
		.amdhsa_exception_fp_ieee_inexact 0
		.amdhsa_exception_int_div_zero 0
	.end_amdhsa_kernel
	.section	.text._ZN9rocsolver6v33100L11gemm_kernelI19rocblas_complex_numIfEiS3_PS3_PKS4_S4_EEvT0_S7_S7_T1_bT2_lS7_S7_lbT3_lS7_S7_lS8_T4_lS7_S7_l,"axG",@progbits,_ZN9rocsolver6v33100L11gemm_kernelI19rocblas_complex_numIfEiS3_PS3_PKS4_S4_EEvT0_S7_S7_T1_bT2_lS7_S7_lbT3_lS7_S7_lS8_T4_lS7_S7_l,comdat
.Lfunc_end28:
	.size	_ZN9rocsolver6v33100L11gemm_kernelI19rocblas_complex_numIfEiS3_PS3_PKS4_S4_EEvT0_S7_S7_T1_bT2_lS7_S7_lbT3_lS7_S7_lS8_T4_lS7_S7_l, .Lfunc_end28-_ZN9rocsolver6v33100L11gemm_kernelI19rocblas_complex_numIfEiS3_PS3_PKS4_S4_EEvT0_S7_S7_T1_bT2_lS7_S7_lbT3_lS7_S7_lS8_T4_lS7_S7_l
                                        ; -- End function
	.section	.AMDGPU.csdata,"",@progbits
; Kernel info:
; codeLenInByte = 628
; NumSgprs: 32
; NumVgprs: 14
; NumAgprs: 0
; TotalNumVgprs: 14
; ScratchSize: 0
; MemoryBound: 0
; FloatMode: 240
; IeeeMode: 1
; LDSByteSize: 0 bytes/workgroup (compile time only)
; SGPRBlocks: 3
; VGPRBlocks: 1
; NumSGPRsForWavesPerEU: 32
; NumVGPRsForWavesPerEU: 14
; AccumOffset: 16
; Occupancy: 8
; WaveLimiterHint : 1
; COMPUTE_PGM_RSRC2:SCRATCH_EN: 0
; COMPUTE_PGM_RSRC2:USER_SGPR: 6
; COMPUTE_PGM_RSRC2:TRAP_HANDLER: 0
; COMPUTE_PGM_RSRC2:TGID_X_EN: 1
; COMPUTE_PGM_RSRC2:TGID_Y_EN: 1
; COMPUTE_PGM_RSRC2:TGID_Z_EN: 1
; COMPUTE_PGM_RSRC2:TIDIG_COMP_CNT: 1
; COMPUTE_PGM_RSRC3_GFX90A:ACCUM_OFFSET: 3
; COMPUTE_PGM_RSRC3_GFX90A:TG_SPLIT: 0
	.section	.text._ZN9rocsolver6v33100L16mfma_gemm_kernelI19rocblas_complex_numIfEiPKS3_PS3_S6_PKS6_EEv18rocblas_operation_S9_T0_SA_SA_T1_T2_lSA_SA_lT3_lSA_SA_lSB_T4_lSA_SA_l,"axG",@progbits,_ZN9rocsolver6v33100L16mfma_gemm_kernelI19rocblas_complex_numIfEiPKS3_PS3_S6_PKS6_EEv18rocblas_operation_S9_T0_SA_SA_T1_T2_lSA_SA_lT3_lSA_SA_lSB_T4_lSA_SA_l,comdat
	.globl	_ZN9rocsolver6v33100L16mfma_gemm_kernelI19rocblas_complex_numIfEiPKS3_PS3_S6_PKS6_EEv18rocblas_operation_S9_T0_SA_SA_T1_T2_lSA_SA_lT3_lSA_SA_lSB_T4_lSA_SA_l ; -- Begin function _ZN9rocsolver6v33100L16mfma_gemm_kernelI19rocblas_complex_numIfEiPKS3_PS3_S6_PKS6_EEv18rocblas_operation_S9_T0_SA_SA_T1_T2_lSA_SA_lT3_lSA_SA_lSB_T4_lSA_SA_l
	.p2align	8
	.type	_ZN9rocsolver6v33100L16mfma_gemm_kernelI19rocblas_complex_numIfEiPKS3_PS3_S6_PKS6_EEv18rocblas_operation_S9_T0_SA_SA_T1_T2_lSA_SA_lT3_lSA_SA_lSB_T4_lSA_SA_l,@function
_ZN9rocsolver6v33100L16mfma_gemm_kernelI19rocblas_complex_numIfEiPKS3_PS3_S6_PKS6_EEv18rocblas_operation_S9_T0_SA_SA_T1_T2_lSA_SA_lT3_lSA_SA_lSB_T4_lSA_SA_l: ; @_ZN9rocsolver6v33100L16mfma_gemm_kernelI19rocblas_complex_numIfEiPKS3_PS3_S6_PKS6_EEv18rocblas_operation_S9_T0_SA_SA_T1_T2_lSA_SA_lT3_lSA_SA_lSB_T4_lSA_SA_l
; %bb.0:
	s_load_dword s0, s[6:7], 0x94
	s_load_dwordx4 s[28:31], s[6:7], 0x0
	v_and_b32_e32 v17, 0x3ff, v0
	v_bfe_u32 v1, v0, 10, 10
	v_lshrrev_b32_e32 v2, 6, v17
	s_waitcnt lgkmcnt(0)
	s_lshr_b32 s1, s0, 16
	s_bfe_u32 s0, s0, 0xa0006
	s_mul_i32 s8, s8, s0
	s_mul_i32 s9, s9, s1
	v_add_lshl_u32 v18, s8, v2, 4
	v_add_u32_e32 v2, s9, v1
	v_lshlrev_b32_e32 v19, 4, v2
	v_cmp_gt_i32_e32 vcc, s30, v18
	v_cmp_gt_i32_e64 s[0:1], s31, v19
	s_and_b64 s[0:1], vcc, s[0:1]
	s_and_saveexec_b64 s[2:3], s[0:1]
	s_cbranch_execz .LBB29_37
; %bb.1:
	s_load_dwordx2 s[8:9], s[4:5], 0x4
	s_load_dword s33, s[6:7], 0x10
	s_load_dwordx4 s[0:3], s[6:7], 0x18
	s_load_dwordx8 s[12:19], s[6:7], 0x58
	v_bfe_u32 v0, v0, 20, 10
	s_waitcnt lgkmcnt(0)
	s_lshr_b32 s4, s8, 16
	s_mul_i32 s4, s4, s9
	v_mul_lo_u32 v2, s4, v17
	s_ashr_i32 s4, s30, 31
	s_lshr_b32 s4, s4, 28
	s_add_i32 s4, s30, s4
	s_and_b32 s4, s4, -16
	v_mul_u32_u24_e32 v1, s9, v1
	s_sub_i32 s4, s30, s4
	v_add3_u32 v0, v2, v1, v0
	v_mov_b32_e32 v1, s4
	s_ashr_i32 s4, s31, 31
	s_lshr_b32 s4, s4, 28
	v_mul_lo_u32 v23, v0, 20
	v_add_u32_e32 v0, 16, v18
	s_add_i32 s4, s31, s4
	v_cmp_lt_i32_e32 vcc, s30, v0
	v_add_u32_e32 v0, 16, v19
	s_and_b32 s4, s4, -16
	s_ashr_i32 s11, s10, 31
	v_cndmask_b32_e32 v16, 16, v1, vcc
	s_sub_i32 s4, s31, s4
	v_cmp_lt_i32_e32 vcc, s31, v0
	s_load_dwordx2 s[34:35], s[0:1], 0x0
	s_load_dwordx2 s[30:31], s[14:15], 0x0
	s_lshl_b64 s[0:1], s[10:11], 3
	s_add_u32 s0, s16, s0
	s_addc_u32 s1, s17, s1
	s_load_dwordx2 s[14:15], s[0:1], 0x0
	v_mov_b32_e32 v1, s4
	v_cndmask_b32_e32 v20, 16, v1, vcc
	v_bfe_u32 v21, v17, 2, 4
	v_and_b32_e32 v22, 3, v17
	s_cmp_lt_i32 s33, 1
	v_mov_b32_e32 v1, 0
	s_mov_b32 s40, 0
	v_cmp_lt_i32_e64 s[0:1], v21, v20
	v_mbcnt_lo_u32_b32 v24, -1, 0
	v_mov_b32_e32 v2, 0
	v_mov_b32_e32 v13, 0
	;; [unrolled: 1-line block ×7, first 2 shown]
	ds_write2_b32 v23, v1, v1 offset0:2 offset1:3
	ds_write2_b32 v23, v1, v1 offset1:1
	ds_write_b32 v23, v1 offset:16
	s_cbranch_scc1 .LBB29_29
; %bb.2:
	s_load_dwordx8 s[20:27], s[6:7], 0x28
	s_load_dwordx4 s[36:39], s[6:7], 0x48
	v_and_b32_e32 v2, 63, v17
	v_lshrrev_b32_e32 v29, 4, v2
	s_waitcnt lgkmcnt(0)
	s_mul_i32 s4, s10, s25
	s_mul_hi_u32 s5, s10, s24
	s_mul_i32 s8, s11, s24
	s_add_i32 s4, s5, s4
	s_add_i32 s5, s4, s8
	s_mul_i32 s4, s10, s24
	s_lshl_b64 s[4:5], s[4:5], 3
	s_add_u32 s4, s2, s4
	s_addc_u32 s5, s3, s5
	s_lshl_b64 s[2:3], s[20:21], 3
	s_add_u32 s4, s4, s2
	s_addc_u32 s5, s5, s3
	s_mul_i32 s2, s10, s13
	s_mul_hi_u32 s3, s10, s12
	s_add_i32 s2, s3, s2
	s_mul_i32 s3, s11, s12
	s_add_i32 s3, s2, s3
	s_mul_i32 s2, s10, s12
	s_lshl_b64 s[2:3], s[2:3], 3
	s_add_u32 s8, s26, s2
	s_addc_u32 s9, s27, s3
	s_lshl_b64 s[2:3], s[36:37], 3
	s_add_u32 s2, s8, s2
	s_addc_u32 s3, s9, s3
	s_cmpk_lg_i32 s28, 0x6f
	s_cselect_b64 s[10:11], -1, 0
	s_cmpk_eq_i32 s28, 0x6f
	s_cselect_b32 s8, s22, s23
	v_mul_lo_u32 v0, v18, s8
	v_ashrrev_i32_e32 v1, 31, v0
	s_cmpk_lg_i32 s29, 0x6f
	v_lshlrev_b64 v[0:1], 3, v[0:1]
	s_cselect_b64 s[12:13], -1, 0
	s_cmpk_eq_i32 s29, 0x6f
	v_add_co_u32_e32 v25, vcc, s4, v0
	s_cselect_b32 s4, s39, s38
	v_mov_b32_e32 v3, s5
	v_mul_lo_u32 v0, v19, s4
	v_addc_co_u32_e32 v26, vcc, v3, v1, vcc
	v_ashrrev_i32_e32 v1, 31, v0
	v_lshlrev_b64 v[0:1], 3, v[0:1]
	v_mov_b32_e32 v3, s3
	v_add_co_u32_e32 v27, vcc, s2, v0
	v_addc_co_u32_e32 v28, vcc, v3, v1, vcc
	v_and_b32_e32 v1, 15, v17
	v_mul_lo_u32 v0, v1, s22
	s_cmpk_eq_i32 s28, 0x71
	v_mad_u64_u32 v[4:5], s[24:25], s23, v29, v[0:1]
	v_mul_lo_u32 v0, s22, v22
	s_cselect_b64 s[16:17], -1, 0
	s_cmpk_eq_i32 s29, 0x71
	v_mad_u64_u32 v[6:7], s[24:25], v21, s23, v[0:1]
	v_mul_lo_u32 v0, s38, v22
	v_lshl_or_b32 v3, v1, 2, v29
	v_cmp_lt_i32_e64 s[4:5], v1, v16
	v_cmp_lt_i32_e64 s[8:9], v1, v20
	v_mul_lo_u32 v2, v1, s38
	s_cselect_b64 s[20:21], -1, 0
	s_lshl_b32 s26, s23, 2
	s_lshl_b32 s27, s22, 2
	v_mad_u64_u32 v[8:9], s[22:23], v21, s39, v[0:1]
	v_mbcnt_hi_u32_b32 v1, -1, v24
	v_mov_b32_e32 v0, 0
	v_and_or_b32 v1, v1, 64, v3
	v_cmp_lt_i32_e64 s[2:3], v21, v16
	s_lshl_b32 s28, s38, 2
	v_mad_u64_u32 v[10:11], s[22:23], s39, v29, v[2:3]
	s_lshl_b32 s29, s39, 2
	v_lshlrev_b32_e32 v30, 2, v1
	v_mov_b32_e32 v3, v0
	v_mov_b32_e32 v2, v0
	;; [unrolled: 1-line block ×3, first 2 shown]
	s_branch .LBB29_6
.LBB29_3:                               ;   in Loop: Header=BB29_6 Depth=1
	s_or_b64 exec, exec, s[24:25]
.LBB29_4:                               ;   in Loop: Header=BB29_6 Depth=1
	s_or_b64 exec, exec, s[22:23]
	s_waitcnt vmcnt(0)
	ds_bpermute_b32 v14, v30, v14
	ds_bpermute_b32 v15, v30, v15
.LBB29_5:                               ;   in Loop: Header=BB29_6 Depth=1
	s_waitcnt vmcnt(0) lgkmcnt(0)
	v_cndmask_b32_e64 v7, v13, -v13, s[16:17]
	v_cndmask_b32_e64 v5, v15, -v15, s[20:21]
	v_mfma_f32_16x16x4f32 v[32:35], v12, v14, 0
	s_add_i32 s40, s40, 4
	v_add_u32_e32 v4, s26, v4
	v_add_u32_e32 v6, s27, v6
	;; [unrolled: 1-line block ×3, first 2 shown]
	s_cmp_ge_i32 s40, s33
	v_add_u32_e32 v10, s29, v10
	v_mfma_f32_16x16x4f32 v[40:43], v7, v5, 0
	v_mfma_f32_16x16x4f32 v[36:39], v12, v5, 0
	ds_read2_b32 v[12:13], v23 offset1:1
	ds_read2_b32 v[44:45], v23 offset0:3 offset1:4
	ds_read2_b32 v[46:47], v23 offset0:2 offset1:3
	;; [unrolled: 1-line block ×3, first 2 shown]
	s_nop 5
	v_sub_f32_e32 v35, v35, v43
	v_sub_f32_e32 v34, v34, v42
	;; [unrolled: 1-line block ×4, first 2 shown]
	s_waitcnt lgkmcnt(1)
	v_mov_b32_e32 v13, v46
	v_pk_add_f32 v[12:13], v[12:13], v[32:33]
	v_pk_add_f32 v[0:1], v[0:1], v[34:35]
	v_mfma_f32_16x16x4f32 v[32:35], v7, v14, 0
	s_waitcnt lgkmcnt(0)
	v_mov_b32_e32 v49, v44
	s_nop 7
	s_nop 0
	v_pk_add_f32 v[14:15], v[38:39], v[34:35]
	v_pk_add_f32 v[32:33], v[36:37], v[32:33]
	;; [unrolled: 1-line block ×4, first 2 shown]
	ds_write2_b32 v23, v12, v14 offset1:1
	v_mov_b32_e32 v12, v13
	v_mov_b32_e32 v5, v15
	ds_write2_b32 v23, v13, v15 offset0:2 offset1:3
	ds_write_b32 v23, v0 offset:16
	s_cbranch_scc1 .LBB29_28
.LBB29_6:                               ; =>This Inner Loop Header: Depth=1
	s_and_b64 vcc, exec, s[10:11]
	s_cbranch_vccz .LBB29_18
; %bb.7:                                ;   in Loop: Header=BB29_6 Depth=1
	v_mov_b32_e32 v12, 0
	v_mov_b32_e32 v13, 0
	s_and_saveexec_b64 s[22:23], s[2:3]
	s_cbranch_execz .LBB29_11
; %bb.8:                                ;   in Loop: Header=BB29_6 Depth=1
	v_add_u32_e32 v5, s40, v22
	v_cmp_gt_i32_e32 vcc, s33, v5
	v_mov_b32_e32 v13, 0
	v_mov_b32_e32 v12, 0
	s_and_saveexec_b64 s[24:25], vcc
	s_cbranch_execz .LBB29_10
; %bb.9:                                ;   in Loop: Header=BB29_6 Depth=1
	v_ashrrev_i32_e32 v7, 31, v6
	v_lshlrev_b64 v[12:13], 3, v[6:7]
	v_add_co_u32_e32 v12, vcc, v25, v12
	v_addc_co_u32_e32 v13, vcc, v26, v13, vcc
	global_load_dwordx2 v[12:13], v[12:13], off
.LBB29_10:                              ;   in Loop: Header=BB29_6 Depth=1
	s_or_b64 exec, exec, s[24:25]
.LBB29_11:                              ;   in Loop: Header=BB29_6 Depth=1
	s_or_b64 exec, exec, s[22:23]
	s_waitcnt vmcnt(0)
	ds_bpermute_b32 v12, v30, v12
	ds_bpermute_b32 v13, v30, v13
.LBB29_12:                              ;   in Loop: Header=BB29_6 Depth=1
	s_and_b64 vcc, exec, s[12:13]
	s_cbranch_vccz .LBB29_24
.LBB29_13:                              ;   in Loop: Header=BB29_6 Depth=1
	v_mov_b32_e32 v15, 0
	v_mov_b32_e32 v14, 0
	s_and_saveexec_b64 s[22:23], s[8:9]
	s_cbranch_execz .LBB29_17
; %bb.14:                               ;   in Loop: Header=BB29_6 Depth=1
	v_add_u32_e32 v5, s40, v29
	v_cmp_gt_i32_e32 vcc, s33, v5
	v_mov_b32_e32 v15, 0
	v_mov_b32_e32 v14, 0
	s_and_saveexec_b64 s[24:25], vcc
	s_cbranch_execz .LBB29_16
; %bb.15:                               ;   in Loop: Header=BB29_6 Depth=1
	v_ashrrev_i32_e32 v11, 31, v10
	v_lshlrev_b64 v[14:15], 3, v[10:11]
	v_add_co_u32_e32 v14, vcc, v27, v14
	v_addc_co_u32_e32 v15, vcc, v28, v15, vcc
	global_load_dwordx2 v[14:15], v[14:15], off
.LBB29_16:                              ;   in Loop: Header=BB29_6 Depth=1
	s_or_b64 exec, exec, s[24:25]
.LBB29_17:                              ;   in Loop: Header=BB29_6 Depth=1
	s_or_b64 exec, exec, s[22:23]
	s_cbranch_execnz .LBB29_5
	s_branch .LBB29_25
.LBB29_18:                              ;   in Loop: Header=BB29_6 Depth=1
                                        ; implicit-def: $vgpr13
	s_cbranch_execz .LBB29_12
; %bb.19:                               ;   in Loop: Header=BB29_6 Depth=1
	s_waitcnt lgkmcnt(0)
	v_mov_b32_e32 v13, 0
	v_mov_b32_e32 v12, 0
	s_and_saveexec_b64 s[22:23], s[4:5]
	s_cbranch_execz .LBB29_23
; %bb.20:                               ;   in Loop: Header=BB29_6 Depth=1
	v_add_u32_e32 v5, s40, v29
	v_cmp_gt_i32_e32 vcc, s33, v5
	v_mov_b32_e32 v13, 0
	v_mov_b32_e32 v12, 0
	s_and_saveexec_b64 s[24:25], vcc
	s_cbranch_execz .LBB29_22
; %bb.21:                               ;   in Loop: Header=BB29_6 Depth=1
	v_ashrrev_i32_e32 v5, 31, v4
	v_lshlrev_b64 v[12:13], 3, v[4:5]
	v_add_co_u32_e32 v12, vcc, v25, v12
	v_addc_co_u32_e32 v13, vcc, v26, v13, vcc
	global_load_dwordx2 v[12:13], v[12:13], off
.LBB29_22:                              ;   in Loop: Header=BB29_6 Depth=1
	s_or_b64 exec, exec, s[24:25]
.LBB29_23:                              ;   in Loop: Header=BB29_6 Depth=1
	s_or_b64 exec, exec, s[22:23]
	s_and_b64 vcc, exec, s[12:13]
	s_cbranch_vccnz .LBB29_13
.LBB29_24:                              ;   in Loop: Header=BB29_6 Depth=1
                                        ; implicit-def: $vgpr15
.LBB29_25:                              ;   in Loop: Header=BB29_6 Depth=1
	s_waitcnt vmcnt(0)
	v_mov_b32_e32 v14, 0
	v_mov_b32_e32 v15, 0
	s_and_saveexec_b64 s[22:23], s[0:1]
	s_cbranch_execz .LBB29_4
; %bb.26:                               ;   in Loop: Header=BB29_6 Depth=1
	v_add_u32_e32 v5, s40, v22
	v_cmp_gt_i32_e32 vcc, s33, v5
	v_mov_b32_e32 v15, 0
	v_mov_b32_e32 v14, 0
	s_and_saveexec_b64 s[24:25], vcc
	s_cbranch_execz .LBB29_3
; %bb.27:                               ;   in Loop: Header=BB29_6 Depth=1
	v_ashrrev_i32_e32 v9, 31, v8
	v_lshlrev_b64 v[14:15], 3, v[8:9]
	v_add_co_u32_e32 v14, vcc, v27, v14
	v_addc_co_u32_e32 v15, vcc, v28, v15, vcc
	global_load_dwordx2 v[14:15], v[14:15], off
	s_branch .LBB29_3
.LBB29_28:
	ds_read_b32 v4, v23
.LBB29_29:
	s_load_dwordx2 s[2:3], s[6:7], 0x78
	s_lshl_b64 s[0:1], s[18:19], 3
	s_waitcnt lgkmcnt(0)
	s_add_u32 s4, s14, s0
	s_addc_u32 s5, s15, s1
	v_mov_b32_e32 v8, s5
	v_mul_lo_u32 v6, v18, s2
	v_mad_u64_u32 v[6:7], s[0:1], v19, s3, v[6:7]
	v_ashrrev_i32_e32 v7, 31, v6
	v_lshlrev_b64 v[6:7], 3, v[6:7]
	v_add_co_u32_e32 v5, vcc, s4, v6
	v_addc_co_u32_e32 v6, vcc, v8, v7, vcc
	v_lshlrev_b32_e32 v8, 4, v17
	v_mbcnt_hi_u32_b32 v9, -1, v24
	v_and_b32_e32 v8, 48, v8
	v_and_b32_e32 v9, 64, v9
	v_or3_b32 v8, v8, v9, v21
	v_lshlrev_b32_e32 v8, 2, v8
	ds_bpermute_b32 v9, v8, v4
	ds_bpermute_b32 v10, v8, v14
	v_lshlrev_b32_e32 v7, 2, v22
	v_cmp_lt_i32_e32 vcc, v21, v20
	v_cmp_lt_i32_e64 s[0:1], v7, v16
	v_mul_lo_u32 v4, v21, s3
	s_and_b64 s[0:1], vcc, s[0:1]
	s_and_saveexec_b64 s[4:5], s[0:1]
	s_cbranch_execz .LBB29_31
; %bb.30:
	v_mad_u64_u32 v[18:19], s[0:1], v7, s2, v[4:5]
	v_ashrrev_i32_e32 v19, 31, v18
	v_lshlrev_b64 v[18:19], 3, v[18:19]
	v_add_co_u32_e64 v18, s[0:1], v5, v18
	v_addc_co_u32_e64 v19, s[0:1], v6, v19, s[0:1]
	global_load_dwordx2 v[20:21], v[18:19], off
	s_waitcnt lgkmcnt(0)
	v_mul_f32_e32 v11, s35, v10
	v_mul_f32_e32 v12, s35, v9
	v_fma_f32 v9, s34, v9, -v11
	v_fmac_f32_e32 v12, s34, v10
	s_waitcnt vmcnt(0)
	v_mul_f32_e32 v10, s31, v21
	v_mul_f32_e32 v11, s30, v21
	v_fma_f32 v10, s30, v20, -v10
	v_fmac_f32_e32 v11, s31, v20
	v_add_f32_e32 v10, v9, v10
	v_add_f32_e32 v11, v12, v11
	global_store_dwordx2 v[18:19], v[10:11], off
.LBB29_31:
	s_or_b64 exec, exec, s[4:5]
	s_waitcnt lgkmcnt(1)
	ds_bpermute_b32 v9, v8, v13
	s_waitcnt lgkmcnt(1)
	ds_bpermute_b32 v10, v8, v15
	v_or_b32_e32 v11, 1, v7
	v_cmp_lt_i32_e64 s[0:1], v11, v16
	s_and_b64 s[0:1], vcc, s[0:1]
	s_and_saveexec_b64 s[4:5], s[0:1]
	s_cbranch_execz .LBB29_33
; %bb.32:
	v_mad_u64_u32 v[12:13], s[0:1], v11, s2, v[4:5]
	v_ashrrev_i32_e32 v13, 31, v12
	v_lshlrev_b64 v[12:13], 3, v[12:13]
	v_add_co_u32_e64 v12, s[0:1], v5, v12
	v_addc_co_u32_e64 v13, s[0:1], v6, v13, s[0:1]
	global_load_dwordx2 v[14:15], v[12:13], off
	s_waitcnt lgkmcnt(0)
	v_mul_f32_e32 v11, s35, v10
	v_mul_f32_e32 v17, s34, v10
	v_fma_f32 v10, s34, v9, -v11
	v_fmac_f32_e32 v17, s35, v9
	s_waitcnt vmcnt(0)
	v_mul_f32_e32 v9, s31, v15
	v_mul_f32_e32 v11, s30, v15
	v_fma_f32 v9, s30, v14, -v9
	v_fmac_f32_e32 v11, s31, v14
	v_add_f32_e32 v10, v10, v9
	v_add_f32_e32 v11, v17, v11
	global_store_dwordx2 v[12:13], v[10:11], off
.LBB29_33:
	s_or_b64 exec, exec, s[4:5]
	ds_bpermute_b32 v0, v8, v0
	ds_bpermute_b32 v2, v8, v2
	s_waitcnt lgkmcnt(3)
	v_or_b32_e32 v9, 2, v7
	v_cmp_lt_i32_e64 s[0:1], v9, v16
	s_and_b64 s[0:1], vcc, s[0:1]
	s_and_saveexec_b64 s[4:5], s[0:1]
	s_cbranch_execz .LBB29_35
; %bb.34:
	s_waitcnt lgkmcnt(2)
	v_mad_u64_u32 v[10:11], s[0:1], v9, s2, v[4:5]
	v_ashrrev_i32_e32 v11, 31, v10
	v_lshlrev_b64 v[10:11], 3, v[10:11]
	v_add_co_u32_e64 v10, s[0:1], v5, v10
	v_addc_co_u32_e64 v11, s[0:1], v6, v11, s[0:1]
	global_load_dwordx2 v[12:13], v[10:11], off
	s_waitcnt lgkmcnt(0)
	v_mul_f32_e32 v9, s35, v2
	v_mul_f32_e32 v2, s34, v2
	v_fma_f32 v9, s34, v0, -v9
	v_fmac_f32_e32 v2, s35, v0
	s_waitcnt vmcnt(0)
	v_mul_f32_e32 v0, s31, v13
	v_mul_f32_e32 v13, s30, v13
	v_fma_f32 v0, s30, v12, -v0
	v_fmac_f32_e32 v13, s31, v12
	v_add_f32_e32 v12, v9, v0
	v_add_f32_e32 v13, v2, v13
	global_store_dwordx2 v[10:11], v[12:13], off
.LBB29_35:
	s_or_b64 exec, exec, s[4:5]
	s_waitcnt lgkmcnt(1)
	ds_bpermute_b32 v0, v8, v1
	ds_bpermute_b32 v1, v8, v3
	s_waitcnt lgkmcnt(2)
	v_or_b32_e32 v2, 3, v7
	v_cmp_lt_i32_e64 s[0:1], v2, v16
	s_and_b64 s[0:1], vcc, s[0:1]
	s_and_b64 exec, exec, s[0:1]
	s_cbranch_execz .LBB29_37
; %bb.36:
	v_mad_u64_u32 v[2:3], s[0:1], v2, s2, v[4:5]
	v_ashrrev_i32_e32 v3, 31, v2
	v_lshlrev_b64 v[2:3], 3, v[2:3]
	v_add_co_u32_e32 v2, vcc, v5, v2
	v_addc_co_u32_e32 v3, vcc, v6, v3, vcc
	global_load_dwordx2 v[4:5], v[2:3], off
	s_waitcnt lgkmcnt(0)
	v_mul_f32_e32 v6, s35, v1
	v_mul_f32_e32 v1, s34, v1
	v_fma_f32 v6, s34, v0, -v6
	v_fmac_f32_e32 v1, s35, v0
	s_waitcnt vmcnt(0)
	v_mul_f32_e32 v0, s31, v5
	v_mul_f32_e32 v5, s30, v5
	v_fma_f32 v0, s30, v4, -v0
	v_fmac_f32_e32 v5, s31, v4
	v_add_f32_e32 v0, v6, v0
	v_add_f32_e32 v1, v1, v5
	global_store_dwordx2 v[2:3], v[0:1], off
.LBB29_37:
	s_endpgm
	.section	.rodata,"a",@progbits
	.p2align	6, 0x0
	.amdhsa_kernel _ZN9rocsolver6v33100L16mfma_gemm_kernelI19rocblas_complex_numIfEiPKS3_PS3_S6_PKS6_EEv18rocblas_operation_S9_T0_SA_SA_T1_T2_lSA_SA_lT3_lSA_SA_lSB_T4_lSA_SA_l
		.amdhsa_group_segment_fixed_size 20480
		.amdhsa_private_segment_fixed_size 0
		.amdhsa_kernarg_size 392
		.amdhsa_user_sgpr_count 8
		.amdhsa_user_sgpr_private_segment_buffer 1
		.amdhsa_user_sgpr_dispatch_ptr 1
		.amdhsa_user_sgpr_queue_ptr 0
		.amdhsa_user_sgpr_kernarg_segment_ptr 1
		.amdhsa_user_sgpr_dispatch_id 0
		.amdhsa_user_sgpr_flat_scratch_init 0
		.amdhsa_user_sgpr_kernarg_preload_length 0
		.amdhsa_user_sgpr_kernarg_preload_offset 0
		.amdhsa_user_sgpr_private_segment_size 0
		.amdhsa_uses_dynamic_stack 0
		.amdhsa_system_sgpr_private_segment_wavefront_offset 0
		.amdhsa_system_sgpr_workgroup_id_x 1
		.amdhsa_system_sgpr_workgroup_id_y 1
		.amdhsa_system_sgpr_workgroup_id_z 1
		.amdhsa_system_sgpr_workgroup_info 0
		.amdhsa_system_vgpr_workitem_id 2
		.amdhsa_next_free_vgpr 50
		.amdhsa_next_free_sgpr 41
		.amdhsa_accum_offset 52
		.amdhsa_reserve_vcc 1
		.amdhsa_reserve_flat_scratch 0
		.amdhsa_float_round_mode_32 0
		.amdhsa_float_round_mode_16_64 0
		.amdhsa_float_denorm_mode_32 3
		.amdhsa_float_denorm_mode_16_64 3
		.amdhsa_dx10_clamp 1
		.amdhsa_ieee_mode 1
		.amdhsa_fp16_overflow 0
		.amdhsa_tg_split 0
		.amdhsa_exception_fp_ieee_invalid_op 0
		.amdhsa_exception_fp_denorm_src 0
		.amdhsa_exception_fp_ieee_div_zero 0
		.amdhsa_exception_fp_ieee_overflow 0
		.amdhsa_exception_fp_ieee_underflow 0
		.amdhsa_exception_fp_ieee_inexact 0
		.amdhsa_exception_int_div_zero 0
	.end_amdhsa_kernel
	.section	.text._ZN9rocsolver6v33100L16mfma_gemm_kernelI19rocblas_complex_numIfEiPKS3_PS3_S6_PKS6_EEv18rocblas_operation_S9_T0_SA_SA_T1_T2_lSA_SA_lT3_lSA_SA_lSB_T4_lSA_SA_l,"axG",@progbits,_ZN9rocsolver6v33100L16mfma_gemm_kernelI19rocblas_complex_numIfEiPKS3_PS3_S6_PKS6_EEv18rocblas_operation_S9_T0_SA_SA_T1_T2_lSA_SA_lT3_lSA_SA_lSB_T4_lSA_SA_l,comdat
.Lfunc_end29:
	.size	_ZN9rocsolver6v33100L16mfma_gemm_kernelI19rocblas_complex_numIfEiPKS3_PS3_S6_PKS6_EEv18rocblas_operation_S9_T0_SA_SA_T1_T2_lSA_SA_lT3_lSA_SA_lSB_T4_lSA_SA_l, .Lfunc_end29-_ZN9rocsolver6v33100L16mfma_gemm_kernelI19rocblas_complex_numIfEiPKS3_PS3_S6_PKS6_EEv18rocblas_operation_S9_T0_SA_SA_T1_T2_lSA_SA_lT3_lSA_SA_lSB_T4_lSA_SA_l
                                        ; -- End function
	.section	.AMDGPU.csdata,"",@progbits
; Kernel info:
; codeLenInByte = 2148
; NumSgprs: 45
; NumVgprs: 50
; NumAgprs: 0
; TotalNumVgprs: 50
; ScratchSize: 0
; MemoryBound: 0
; FloatMode: 240
; IeeeMode: 1
; LDSByteSize: 20480 bytes/workgroup (compile time only)
; SGPRBlocks: 5
; VGPRBlocks: 6
; NumSGPRsForWavesPerEU: 45
; NumVGPRsForWavesPerEU: 50
; AccumOffset: 52
; Occupancy: 8
; WaveLimiterHint : 1
; COMPUTE_PGM_RSRC2:SCRATCH_EN: 0
; COMPUTE_PGM_RSRC2:USER_SGPR: 8
; COMPUTE_PGM_RSRC2:TRAP_HANDLER: 0
; COMPUTE_PGM_RSRC2:TGID_X_EN: 1
; COMPUTE_PGM_RSRC2:TGID_Y_EN: 1
; COMPUTE_PGM_RSRC2:TGID_Z_EN: 1
; COMPUTE_PGM_RSRC2:TIDIG_COMP_CNT: 2
; COMPUTE_PGM_RSRC3_GFX90A:ACCUM_OFFSET: 12
; COMPUTE_PGM_RSRC3_GFX90A:TG_SPLIT: 0
	.section	.text._ZN9rocsolver6v33100L16mfma_gemm_kernelI19rocblas_complex_numIfEiS3_PS3_S4_PKS4_EEv18rocblas_operation_S7_T0_S8_S8_T1_T2_lS8_S8_lT3_lS8_S8_lS9_T4_lS8_S8_l,"axG",@progbits,_ZN9rocsolver6v33100L16mfma_gemm_kernelI19rocblas_complex_numIfEiS3_PS3_S4_PKS4_EEv18rocblas_operation_S7_T0_S8_S8_T1_T2_lS8_S8_lT3_lS8_S8_lS9_T4_lS8_S8_l,comdat
	.globl	_ZN9rocsolver6v33100L16mfma_gemm_kernelI19rocblas_complex_numIfEiS3_PS3_S4_PKS4_EEv18rocblas_operation_S7_T0_S8_S8_T1_T2_lS8_S8_lT3_lS8_S8_lS9_T4_lS8_S8_l ; -- Begin function _ZN9rocsolver6v33100L16mfma_gemm_kernelI19rocblas_complex_numIfEiS3_PS3_S4_PKS4_EEv18rocblas_operation_S7_T0_S8_S8_T1_T2_lS8_S8_lT3_lS8_S8_lS9_T4_lS8_S8_l
	.p2align	8
	.type	_ZN9rocsolver6v33100L16mfma_gemm_kernelI19rocblas_complex_numIfEiS3_PS3_S4_PKS4_EEv18rocblas_operation_S7_T0_S8_S8_T1_T2_lS8_S8_lT3_lS8_S8_lS9_T4_lS8_S8_l,@function
_ZN9rocsolver6v33100L16mfma_gemm_kernelI19rocblas_complex_numIfEiS3_PS3_S4_PKS4_EEv18rocblas_operation_S7_T0_S8_S8_T1_T2_lS8_S8_lT3_lS8_S8_lS9_T4_lS8_S8_l: ; @_ZN9rocsolver6v33100L16mfma_gemm_kernelI19rocblas_complex_numIfEiS3_PS3_S4_PKS4_EEv18rocblas_operation_S7_T0_S8_S8_T1_T2_lS8_S8_lT3_lS8_S8_lS9_T4_lS8_S8_l
; %bb.0:
	s_load_dword s0, s[6:7], 0x94
	s_load_dwordx4 s[28:31], s[6:7], 0x0
	v_and_b32_e32 v17, 0x3ff, v0
	v_bfe_u32 v1, v0, 10, 10
	v_lshrrev_b32_e32 v2, 6, v17
	s_waitcnt lgkmcnt(0)
	s_lshr_b32 s1, s0, 16
	s_bfe_u32 s0, s0, 0xa0006
	s_mul_i32 s8, s8, s0
	s_mul_i32 s9, s9, s1
	v_add_lshl_u32 v18, s8, v2, 4
	v_add_u32_e32 v2, s9, v1
	v_lshlrev_b32_e32 v19, 4, v2
	v_cmp_gt_i32_e32 vcc, s30, v18
	v_cmp_gt_i32_e64 s[0:1], s31, v19
	s_and_b64 s[0:1], vcc, s[0:1]
	s_and_saveexec_b64 s[2:3], s[0:1]
	s_cbranch_execz .LBB30_37
; %bb.1:
	s_load_dwordx2 s[0:1], s[4:5], 0x4
	s_load_dwordx4 s[20:23], s[6:7], 0x10
	s_load_dwordx2 s[34:35], s[6:7], 0x60
	s_load_dwordx4 s[24:27], s[6:7], 0x68
	v_bfe_u32 v0, v0, 20, 10
	s_waitcnt lgkmcnt(0)
	s_lshr_b32 s0, s0, 16
	s_mul_i32 s0, s0, s1
	v_mul_lo_u32 v2, s0, v17
	s_ashr_i32 s0, s30, 31
	s_lshr_b32 s0, s0, 28
	s_add_i32 s0, s30, s0
	s_and_b32 s0, s0, -16
	v_mul_u32_u24_e32 v1, s1, v1
	s_sub_i32 s0, s30, s0
	v_add3_u32 v0, v2, v1, v0
	v_mov_b32_e32 v1, s0
	s_ashr_i32 s0, s31, 31
	s_lshr_b32 s0, s0, 28
	s_add_i32 s0, s31, s0
	v_mul_lo_u32 v24, v0, 20
	v_add_u32_e32 v0, 16, v18
	s_and_b32 s0, s0, -16
	v_cmp_lt_i32_e32 vcc, s30, v0
	s_sub_i32 s0, s31, s0
	s_ashr_i32 s11, s10, 31
	v_cndmask_b32_e32 v16, 16, v1, vcc
	v_mov_b32_e32 v1, s0
	s_lshl_b64 s[0:1], s[10:11], 3
	s_add_u32 s0, s24, s0
	s_addc_u32 s1, s25, s1
	s_load_dwordx2 s[24:25], s[0:1], 0x0
	v_add_u32_e32 v0, 16, v19
	v_cmp_lt_i32_e32 vcc, s31, v0
	v_cndmask_b32_e32 v20, 16, v1, vcc
	v_bfe_u32 v21, v17, 2, 4
	v_and_b32_e32 v22, 3, v17
	s_cmp_lt_i32 s20, 1
	v_mov_b32_e32 v1, 0
	s_mov_b32 s23, 0
	v_cmp_lt_i32_e64 s[0:1], v21, v20
	v_mbcnt_lo_u32_b32 v23, -1, 0
	v_mov_b32_e32 v2, 0
	v_mov_b32_e32 v13, 0
	;; [unrolled: 1-line block ×7, first 2 shown]
	ds_write2_b32 v24, v1, v1 offset0:2 offset1:3
	ds_write2_b32 v24, v1, v1 offset1:1
	ds_write_b32 v24, v1 offset:16
	s_cbranch_scc1 .LBB30_29
; %bb.2:
	s_load_dwordx8 s[12:19], s[6:7], 0x38
	s_load_dwordx4 s[36:39], s[6:7], 0x20
	s_load_dwordx2 s[40:41], s[6:7], 0x30
	s_load_dwordx2 s[2:3], s[6:7], 0x58
	v_and_b32_e32 v2, 63, v17
	v_lshrrev_b32_e32 v29, 4, v2
	s_waitcnt lgkmcnt(0)
	s_mul_i32 s4, s10, s13
	s_mul_hi_u32 s5, s10, s12
	s_add_i32 s4, s5, s4
	s_mul_i32 s5, s11, s12
	s_add_i32 s5, s4, s5
	s_mul_i32 s4, s10, s12
	s_lshl_b64 s[4:5], s[4:5], 3
	s_add_u32 s8, s36, s4
	s_addc_u32 s9, s37, s5
	s_lshl_b64 s[4:5], s[38:39], 3
	s_add_u32 s4, s8, s4
	s_mul_i32 s3, s10, s3
	s_mul_hi_u32 s8, s10, s2
	s_addc_u32 s5, s9, s5
	s_add_i32 s3, s8, s3
	s_mul_i32 s8, s11, s2
	s_add_i32 s3, s3, s8
	s_mul_i32 s2, s10, s2
	s_lshl_b64 s[2:3], s[2:3], 3
	s_add_u32 s8, s14, s2
	s_addc_u32 s9, s15, s3
	s_lshl_b64 s[2:3], s[16:17], 3
	s_add_u32 s2, s8, s2
	s_addc_u32 s3, s9, s3
	s_cmpk_lg_i32 s28, 0x6f
	s_cselect_b64 s[10:11], -1, 0
	s_cmpk_eq_i32 s28, 0x6f
	s_cselect_b32 s8, s40, s41
	v_mul_lo_u32 v0, v18, s8
	v_ashrrev_i32_e32 v1, 31, v0
	s_cmpk_lg_i32 s29, 0x6f
	v_lshlrev_b64 v[0:1], 3, v[0:1]
	s_cselect_b64 s[12:13], -1, 0
	s_cmpk_eq_i32 s29, 0x6f
	v_add_co_u32_e32 v25, vcc, s4, v0
	s_cselect_b32 s4, s19, s18
	v_mov_b32_e32 v3, s5
	v_mul_lo_u32 v0, v19, s4
	v_addc_co_u32_e32 v26, vcc, v3, v1, vcc
	v_ashrrev_i32_e32 v1, 31, v0
	v_lshlrev_b64 v[0:1], 3, v[0:1]
	v_mov_b32_e32 v3, s3
	v_add_co_u32_e32 v27, vcc, s2, v0
	v_addc_co_u32_e32 v28, vcc, v3, v1, vcc
	v_and_b32_e32 v1, 15, v17
	v_mul_lo_u32 v0, v1, s40
	s_cmpk_eq_i32 s28, 0x71
	s_cselect_b64 s[14:15], -1, 0
	s_cmpk_eq_i32 s29, 0x71
	v_mad_u64_u32 v[4:5], s[28:29], s41, v29, v[0:1]
	v_mul_lo_u32 v0, s40, v22
	v_mad_u64_u32 v[6:7], s[28:29], v21, s41, v[0:1]
	v_mul_lo_u32 v0, s18, v22
	v_lshl_or_b32 v3, v1, 2, v29
	v_cmp_lt_i32_e64 s[4:5], v1, v16
	v_cmp_lt_i32_e64 s[8:9], v1, v20
	v_mul_lo_u32 v2, v1, s18
	v_mad_u64_u32 v[8:9], s[28:29], v21, s19, v[0:1]
	v_mbcnt_hi_u32_b32 v1, -1, v23
	v_mov_b32_e32 v0, 0
	v_and_or_b32 v1, v1, 64, v3
	v_cmp_lt_i32_e64 s[2:3], v21, v16
	s_cselect_b64 s[16:17], -1, 0
	s_lshl_b32 s30, s41, 2
	s_lshl_b32 s31, s40, 2
	s_lshl_b32 s33, s18, 2
	v_mad_u64_u32 v[10:11], s[28:29], s19, v29, v[2:3]
	s_lshl_b32 s36, s19, 2
	v_lshlrev_b32_e32 v30, 2, v1
	v_mov_b32_e32 v3, v0
	v_mov_b32_e32 v2, v0
	;; [unrolled: 1-line block ×3, first 2 shown]
	s_branch .LBB30_6
.LBB30_3:                               ;   in Loop: Header=BB30_6 Depth=1
	s_or_b64 exec, exec, s[28:29]
.LBB30_4:                               ;   in Loop: Header=BB30_6 Depth=1
	s_or_b64 exec, exec, s[18:19]
	s_waitcnt vmcnt(0)
	ds_bpermute_b32 v14, v30, v14
	ds_bpermute_b32 v15, v30, v15
.LBB30_5:                               ;   in Loop: Header=BB30_6 Depth=1
	s_waitcnt vmcnt(0) lgkmcnt(0)
	v_cndmask_b32_e64 v7, v13, -v13, s[14:15]
	v_cndmask_b32_e64 v5, v15, -v15, s[16:17]
	v_mfma_f32_16x16x4f32 v[32:35], v12, v14, 0
	s_add_i32 s23, s23, 4
	v_add_u32_e32 v4, s30, v4
	v_add_u32_e32 v6, s31, v6
	;; [unrolled: 1-line block ×3, first 2 shown]
	s_cmp_ge_i32 s23, s20
	v_add_u32_e32 v10, s36, v10
	v_mfma_f32_16x16x4f32 v[40:43], v7, v5, 0
	v_mfma_f32_16x16x4f32 v[36:39], v12, v5, 0
	ds_read2_b32 v[12:13], v24 offset1:1
	ds_read2_b32 v[44:45], v24 offset0:3 offset1:4
	ds_read2_b32 v[46:47], v24 offset0:2 offset1:3
	;; [unrolled: 1-line block ×3, first 2 shown]
	s_nop 5
	v_sub_f32_e32 v35, v35, v43
	v_sub_f32_e32 v34, v34, v42
	;; [unrolled: 1-line block ×4, first 2 shown]
	s_waitcnt lgkmcnt(1)
	v_mov_b32_e32 v13, v46
	v_pk_add_f32 v[12:13], v[12:13], v[32:33]
	v_pk_add_f32 v[0:1], v[0:1], v[34:35]
	v_mfma_f32_16x16x4f32 v[32:35], v7, v14, 0
	s_waitcnt lgkmcnt(0)
	v_mov_b32_e32 v49, v44
	s_nop 7
	s_nop 0
	v_pk_add_f32 v[14:15], v[38:39], v[34:35]
	v_pk_add_f32 v[32:33], v[36:37], v[32:33]
	;; [unrolled: 1-line block ×4, first 2 shown]
	ds_write2_b32 v24, v12, v14 offset1:1
	v_mov_b32_e32 v12, v13
	v_mov_b32_e32 v5, v15
	ds_write2_b32 v24, v13, v15 offset0:2 offset1:3
	ds_write_b32 v24, v0 offset:16
	s_cbranch_scc1 .LBB30_28
.LBB30_6:                               ; =>This Inner Loop Header: Depth=1
	s_and_b64 vcc, exec, s[10:11]
	s_cbranch_vccz .LBB30_18
; %bb.7:                                ;   in Loop: Header=BB30_6 Depth=1
	v_mov_b32_e32 v12, 0
	v_mov_b32_e32 v13, 0
	s_and_saveexec_b64 s[18:19], s[2:3]
	s_cbranch_execz .LBB30_11
; %bb.8:                                ;   in Loop: Header=BB30_6 Depth=1
	v_add_u32_e32 v5, s23, v22
	v_cmp_gt_i32_e32 vcc, s20, v5
	v_mov_b32_e32 v13, 0
	v_mov_b32_e32 v12, 0
	s_and_saveexec_b64 s[28:29], vcc
	s_cbranch_execz .LBB30_10
; %bb.9:                                ;   in Loop: Header=BB30_6 Depth=1
	v_ashrrev_i32_e32 v7, 31, v6
	v_lshlrev_b64 v[12:13], 3, v[6:7]
	v_add_co_u32_e32 v12, vcc, v25, v12
	v_addc_co_u32_e32 v13, vcc, v26, v13, vcc
	global_load_dwordx2 v[12:13], v[12:13], off
.LBB30_10:                              ;   in Loop: Header=BB30_6 Depth=1
	s_or_b64 exec, exec, s[28:29]
.LBB30_11:                              ;   in Loop: Header=BB30_6 Depth=1
	s_or_b64 exec, exec, s[18:19]
	s_waitcnt vmcnt(0)
	ds_bpermute_b32 v12, v30, v12
	ds_bpermute_b32 v13, v30, v13
.LBB30_12:                              ;   in Loop: Header=BB30_6 Depth=1
	s_and_b64 vcc, exec, s[12:13]
	s_cbranch_vccz .LBB30_24
.LBB30_13:                              ;   in Loop: Header=BB30_6 Depth=1
	v_mov_b32_e32 v15, 0
	v_mov_b32_e32 v14, 0
	s_and_saveexec_b64 s[18:19], s[8:9]
	s_cbranch_execz .LBB30_17
; %bb.14:                               ;   in Loop: Header=BB30_6 Depth=1
	v_add_u32_e32 v5, s23, v29
	v_cmp_gt_i32_e32 vcc, s20, v5
	v_mov_b32_e32 v15, 0
	v_mov_b32_e32 v14, 0
	s_and_saveexec_b64 s[28:29], vcc
	s_cbranch_execz .LBB30_16
; %bb.15:                               ;   in Loop: Header=BB30_6 Depth=1
	v_ashrrev_i32_e32 v11, 31, v10
	v_lshlrev_b64 v[14:15], 3, v[10:11]
	v_add_co_u32_e32 v14, vcc, v27, v14
	v_addc_co_u32_e32 v15, vcc, v28, v15, vcc
	global_load_dwordx2 v[14:15], v[14:15], off
.LBB30_16:                              ;   in Loop: Header=BB30_6 Depth=1
	s_or_b64 exec, exec, s[28:29]
.LBB30_17:                              ;   in Loop: Header=BB30_6 Depth=1
	s_or_b64 exec, exec, s[18:19]
	s_cbranch_execnz .LBB30_5
	s_branch .LBB30_25
.LBB30_18:                              ;   in Loop: Header=BB30_6 Depth=1
                                        ; implicit-def: $vgpr13
	s_cbranch_execz .LBB30_12
; %bb.19:                               ;   in Loop: Header=BB30_6 Depth=1
	s_waitcnt lgkmcnt(0)
	v_mov_b32_e32 v13, 0
	v_mov_b32_e32 v12, 0
	s_and_saveexec_b64 s[18:19], s[4:5]
	s_cbranch_execz .LBB30_23
; %bb.20:                               ;   in Loop: Header=BB30_6 Depth=1
	v_add_u32_e32 v5, s23, v29
	v_cmp_gt_i32_e32 vcc, s20, v5
	v_mov_b32_e32 v13, 0
	v_mov_b32_e32 v12, 0
	s_and_saveexec_b64 s[28:29], vcc
	s_cbranch_execz .LBB30_22
; %bb.21:                               ;   in Loop: Header=BB30_6 Depth=1
	v_ashrrev_i32_e32 v5, 31, v4
	v_lshlrev_b64 v[12:13], 3, v[4:5]
	v_add_co_u32_e32 v12, vcc, v25, v12
	v_addc_co_u32_e32 v13, vcc, v26, v13, vcc
	global_load_dwordx2 v[12:13], v[12:13], off
.LBB30_22:                              ;   in Loop: Header=BB30_6 Depth=1
	s_or_b64 exec, exec, s[28:29]
.LBB30_23:                              ;   in Loop: Header=BB30_6 Depth=1
	s_or_b64 exec, exec, s[18:19]
	s_and_b64 vcc, exec, s[12:13]
	s_cbranch_vccnz .LBB30_13
.LBB30_24:                              ;   in Loop: Header=BB30_6 Depth=1
                                        ; implicit-def: $vgpr15
.LBB30_25:                              ;   in Loop: Header=BB30_6 Depth=1
	s_waitcnt vmcnt(0)
	v_mov_b32_e32 v14, 0
	v_mov_b32_e32 v15, 0
	s_and_saveexec_b64 s[18:19], s[0:1]
	s_cbranch_execz .LBB30_4
; %bb.26:                               ;   in Loop: Header=BB30_6 Depth=1
	v_add_u32_e32 v5, s23, v22
	v_cmp_gt_i32_e32 vcc, s20, v5
	v_mov_b32_e32 v15, 0
	v_mov_b32_e32 v14, 0
	s_and_saveexec_b64 s[28:29], vcc
	s_cbranch_execz .LBB30_3
; %bb.27:                               ;   in Loop: Header=BB30_6 Depth=1
	v_ashrrev_i32_e32 v9, 31, v8
	v_lshlrev_b64 v[14:15], 3, v[8:9]
	v_add_co_u32_e32 v14, vcc, v27, v14
	v_addc_co_u32_e32 v15, vcc, v28, v15, vcc
	global_load_dwordx2 v[14:15], v[14:15], off
	s_branch .LBB30_3
.LBB30_28:
	ds_read_b32 v4, v24
.LBB30_29:
	s_load_dwordx2 s[2:3], s[6:7], 0x78
	s_lshl_b64 s[0:1], s[26:27], 3
	s_waitcnt lgkmcnt(0)
	s_add_u32 s4, s24, s0
	s_addc_u32 s5, s25, s1
	v_mov_b32_e32 v8, s5
	v_mul_lo_u32 v6, v18, s2
	v_mad_u64_u32 v[6:7], s[0:1], v19, s3, v[6:7]
	v_ashrrev_i32_e32 v7, 31, v6
	v_lshlrev_b64 v[6:7], 3, v[6:7]
	v_add_co_u32_e32 v5, vcc, s4, v6
	v_addc_co_u32_e32 v6, vcc, v8, v7, vcc
	v_lshlrev_b32_e32 v8, 4, v17
	v_mbcnt_hi_u32_b32 v9, -1, v23
	v_and_b32_e32 v8, 48, v8
	v_and_b32_e32 v9, 64, v9
	v_or3_b32 v8, v8, v9, v21
	v_lshlrev_b32_e32 v8, 2, v8
	ds_bpermute_b32 v9, v8, v4
	ds_bpermute_b32 v10, v8, v14
	v_lshlrev_b32_e32 v7, 2, v22
	v_cmp_lt_i32_e32 vcc, v21, v20
	v_cmp_lt_i32_e64 s[0:1], v7, v16
	v_mul_lo_u32 v4, v21, s3
	s_and_b64 s[0:1], vcc, s[0:1]
	s_and_saveexec_b64 s[4:5], s[0:1]
	s_cbranch_execz .LBB30_31
; %bb.30:
	v_mad_u64_u32 v[18:19], s[0:1], v7, s2, v[4:5]
	v_ashrrev_i32_e32 v19, 31, v18
	v_lshlrev_b64 v[18:19], 3, v[18:19]
	v_add_co_u32_e64 v18, s[0:1], v5, v18
	v_addc_co_u32_e64 v19, s[0:1], v6, v19, s[0:1]
	global_load_dwordx2 v[20:21], v[18:19], off
	s_waitcnt lgkmcnt(0)
	v_mul_f32_e32 v11, s22, v10
	v_mul_f32_e32 v12, s22, v9
	v_fma_f32 v9, s21, v9, -v11
	v_fmac_f32_e32 v12, s21, v10
	s_waitcnt vmcnt(0)
	v_mul_f32_e32 v10, s35, v21
	v_mul_f32_e32 v11, s34, v21
	v_fma_f32 v10, s34, v20, -v10
	v_fmac_f32_e32 v11, s35, v20
	v_add_f32_e32 v10, v9, v10
	v_add_f32_e32 v11, v12, v11
	global_store_dwordx2 v[18:19], v[10:11], off
.LBB30_31:
	s_or_b64 exec, exec, s[4:5]
	s_waitcnt lgkmcnt(1)
	ds_bpermute_b32 v9, v8, v13
	s_waitcnt lgkmcnt(1)
	ds_bpermute_b32 v10, v8, v15
	v_or_b32_e32 v11, 1, v7
	v_cmp_lt_i32_e64 s[0:1], v11, v16
	s_and_b64 s[0:1], vcc, s[0:1]
	s_and_saveexec_b64 s[4:5], s[0:1]
	s_cbranch_execz .LBB30_33
; %bb.32:
	v_mad_u64_u32 v[12:13], s[0:1], v11, s2, v[4:5]
	v_ashrrev_i32_e32 v13, 31, v12
	v_lshlrev_b64 v[12:13], 3, v[12:13]
	v_add_co_u32_e64 v12, s[0:1], v5, v12
	v_addc_co_u32_e64 v13, s[0:1], v6, v13, s[0:1]
	global_load_dwordx2 v[14:15], v[12:13], off
	s_waitcnt lgkmcnt(0)
	v_mul_f32_e32 v11, s22, v10
	v_mul_f32_e32 v17, s21, v10
	v_fma_f32 v10, s21, v9, -v11
	v_fmac_f32_e32 v17, s22, v9
	s_waitcnt vmcnt(0)
	v_mul_f32_e32 v9, s35, v15
	v_mul_f32_e32 v11, s34, v15
	v_fma_f32 v9, s34, v14, -v9
	v_fmac_f32_e32 v11, s35, v14
	v_add_f32_e32 v10, v10, v9
	v_add_f32_e32 v11, v17, v11
	global_store_dwordx2 v[12:13], v[10:11], off
.LBB30_33:
	s_or_b64 exec, exec, s[4:5]
	ds_bpermute_b32 v0, v8, v0
	ds_bpermute_b32 v2, v8, v2
	s_waitcnt lgkmcnt(3)
	v_or_b32_e32 v9, 2, v7
	v_cmp_lt_i32_e64 s[0:1], v9, v16
	s_and_b64 s[0:1], vcc, s[0:1]
	s_and_saveexec_b64 s[4:5], s[0:1]
	s_cbranch_execz .LBB30_35
; %bb.34:
	s_waitcnt lgkmcnt(2)
	v_mad_u64_u32 v[10:11], s[0:1], v9, s2, v[4:5]
	v_ashrrev_i32_e32 v11, 31, v10
	v_lshlrev_b64 v[10:11], 3, v[10:11]
	v_add_co_u32_e64 v10, s[0:1], v5, v10
	v_addc_co_u32_e64 v11, s[0:1], v6, v11, s[0:1]
	global_load_dwordx2 v[12:13], v[10:11], off
	s_waitcnt lgkmcnt(0)
	v_mul_f32_e32 v9, s22, v2
	v_mul_f32_e32 v2, s21, v2
	v_fma_f32 v9, s21, v0, -v9
	v_fmac_f32_e32 v2, s22, v0
	s_waitcnt vmcnt(0)
	v_mul_f32_e32 v0, s35, v13
	v_mul_f32_e32 v13, s34, v13
	v_fma_f32 v0, s34, v12, -v0
	v_fmac_f32_e32 v13, s35, v12
	v_add_f32_e32 v12, v9, v0
	v_add_f32_e32 v13, v2, v13
	global_store_dwordx2 v[10:11], v[12:13], off
.LBB30_35:
	s_or_b64 exec, exec, s[4:5]
	s_waitcnt lgkmcnt(1)
	ds_bpermute_b32 v0, v8, v1
	ds_bpermute_b32 v1, v8, v3
	s_waitcnt lgkmcnt(2)
	v_or_b32_e32 v2, 3, v7
	v_cmp_lt_i32_e64 s[0:1], v2, v16
	s_and_b64 s[0:1], vcc, s[0:1]
	s_and_b64 exec, exec, s[0:1]
	s_cbranch_execz .LBB30_37
; %bb.36:
	v_mad_u64_u32 v[2:3], s[0:1], v2, s2, v[4:5]
	v_ashrrev_i32_e32 v3, 31, v2
	v_lshlrev_b64 v[2:3], 3, v[2:3]
	v_add_co_u32_e32 v2, vcc, v5, v2
	v_addc_co_u32_e32 v3, vcc, v6, v3, vcc
	global_load_dwordx2 v[4:5], v[2:3], off
	s_waitcnt lgkmcnt(0)
	v_mul_f32_e32 v6, s22, v1
	v_mul_f32_e32 v1, s21, v1
	v_fma_f32 v6, s21, v0, -v6
	v_fmac_f32_e32 v1, s22, v0
	s_waitcnt vmcnt(0)
	v_mul_f32_e32 v0, s35, v5
	v_mul_f32_e32 v5, s34, v5
	v_fma_f32 v0, s34, v4, -v0
	v_fmac_f32_e32 v5, s35, v4
	v_add_f32_e32 v0, v6, v0
	v_add_f32_e32 v1, v1, v5
	global_store_dwordx2 v[2:3], v[0:1], off
.LBB30_37:
	s_endpgm
	.section	.rodata,"a",@progbits
	.p2align	6, 0x0
	.amdhsa_kernel _ZN9rocsolver6v33100L16mfma_gemm_kernelI19rocblas_complex_numIfEiS3_PS3_S4_PKS4_EEv18rocblas_operation_S7_T0_S8_S8_T1_T2_lS8_S8_lT3_lS8_S8_lS9_T4_lS8_S8_l
		.amdhsa_group_segment_fixed_size 20480
		.amdhsa_private_segment_fixed_size 0
		.amdhsa_kernarg_size 392
		.amdhsa_user_sgpr_count 8
		.amdhsa_user_sgpr_private_segment_buffer 1
		.amdhsa_user_sgpr_dispatch_ptr 1
		.amdhsa_user_sgpr_queue_ptr 0
		.amdhsa_user_sgpr_kernarg_segment_ptr 1
		.amdhsa_user_sgpr_dispatch_id 0
		.amdhsa_user_sgpr_flat_scratch_init 0
		.amdhsa_user_sgpr_kernarg_preload_length 0
		.amdhsa_user_sgpr_kernarg_preload_offset 0
		.amdhsa_user_sgpr_private_segment_size 0
		.amdhsa_uses_dynamic_stack 0
		.amdhsa_system_sgpr_private_segment_wavefront_offset 0
		.amdhsa_system_sgpr_workgroup_id_x 1
		.amdhsa_system_sgpr_workgroup_id_y 1
		.amdhsa_system_sgpr_workgroup_id_z 1
		.amdhsa_system_sgpr_workgroup_info 0
		.amdhsa_system_vgpr_workitem_id 2
		.amdhsa_next_free_vgpr 50
		.amdhsa_next_free_sgpr 42
		.amdhsa_accum_offset 52
		.amdhsa_reserve_vcc 1
		.amdhsa_reserve_flat_scratch 0
		.amdhsa_float_round_mode_32 0
		.amdhsa_float_round_mode_16_64 0
		.amdhsa_float_denorm_mode_32 3
		.amdhsa_float_denorm_mode_16_64 3
		.amdhsa_dx10_clamp 1
		.amdhsa_ieee_mode 1
		.amdhsa_fp16_overflow 0
		.amdhsa_tg_split 0
		.amdhsa_exception_fp_ieee_invalid_op 0
		.amdhsa_exception_fp_denorm_src 0
		.amdhsa_exception_fp_ieee_div_zero 0
		.amdhsa_exception_fp_ieee_overflow 0
		.amdhsa_exception_fp_ieee_underflow 0
		.amdhsa_exception_fp_ieee_inexact 0
		.amdhsa_exception_int_div_zero 0
	.end_amdhsa_kernel
	.section	.text._ZN9rocsolver6v33100L16mfma_gemm_kernelI19rocblas_complex_numIfEiS3_PS3_S4_PKS4_EEv18rocblas_operation_S7_T0_S8_S8_T1_T2_lS8_S8_lT3_lS8_S8_lS9_T4_lS8_S8_l,"axG",@progbits,_ZN9rocsolver6v33100L16mfma_gemm_kernelI19rocblas_complex_numIfEiS3_PS3_S4_PKS4_EEv18rocblas_operation_S7_T0_S8_S8_T1_T2_lS8_S8_lT3_lS8_S8_lS9_T4_lS8_S8_l,comdat
.Lfunc_end30:
	.size	_ZN9rocsolver6v33100L16mfma_gemm_kernelI19rocblas_complex_numIfEiS3_PS3_S4_PKS4_EEv18rocblas_operation_S7_T0_S8_S8_T1_T2_lS8_S8_lT3_lS8_S8_lS9_T4_lS8_S8_l, .Lfunc_end30-_ZN9rocsolver6v33100L16mfma_gemm_kernelI19rocblas_complex_numIfEiS3_PS3_S4_PKS4_EEv18rocblas_operation_S7_T0_S8_S8_T1_T2_lS8_S8_lT3_lS8_S8_lS9_T4_lS8_S8_l
                                        ; -- End function
	.section	.AMDGPU.csdata,"",@progbits
; Kernel info:
; codeLenInByte = 2148
; NumSgprs: 46
; NumVgprs: 50
; NumAgprs: 0
; TotalNumVgprs: 50
; ScratchSize: 0
; MemoryBound: 0
; FloatMode: 240
; IeeeMode: 1
; LDSByteSize: 20480 bytes/workgroup (compile time only)
; SGPRBlocks: 5
; VGPRBlocks: 6
; NumSGPRsForWavesPerEU: 46
; NumVGPRsForWavesPerEU: 50
; AccumOffset: 52
; Occupancy: 8
; WaveLimiterHint : 1
; COMPUTE_PGM_RSRC2:SCRATCH_EN: 0
; COMPUTE_PGM_RSRC2:USER_SGPR: 8
; COMPUTE_PGM_RSRC2:TRAP_HANDLER: 0
; COMPUTE_PGM_RSRC2:TGID_X_EN: 1
; COMPUTE_PGM_RSRC2:TGID_Y_EN: 1
; COMPUTE_PGM_RSRC2:TGID_Z_EN: 1
; COMPUTE_PGM_RSRC2:TIDIG_COMP_CNT: 2
; COMPUTE_PGM_RSRC3_GFX90A:ACCUM_OFFSET: 12
; COMPUTE_PGM_RSRC3_GFX90A:TG_SPLIT: 0
	.section	.text._ZN9rocsolver6v33100L11gemm_kernelI19rocblas_complex_numIfEiPKS3_PS3_S6_PKS6_EEvT0_S9_S9_T1_bT2_lS9_S9_lbT3_lS9_S9_lSA_T4_lS9_S9_l,"axG",@progbits,_ZN9rocsolver6v33100L11gemm_kernelI19rocblas_complex_numIfEiPKS3_PS3_S6_PKS6_EEvT0_S9_S9_T1_bT2_lS9_S9_lbT3_lS9_S9_lSA_T4_lS9_S9_l,comdat
	.globl	_ZN9rocsolver6v33100L11gemm_kernelI19rocblas_complex_numIfEiPKS3_PS3_S6_PKS6_EEvT0_S9_S9_T1_bT2_lS9_S9_lbT3_lS9_S9_lSA_T4_lS9_S9_l ; -- Begin function _ZN9rocsolver6v33100L11gemm_kernelI19rocblas_complex_numIfEiPKS3_PS3_S6_PKS6_EEvT0_S9_S9_T1_bT2_lS9_S9_lbT3_lS9_S9_lSA_T4_lS9_S9_l
	.p2align	8
	.type	_ZN9rocsolver6v33100L11gemm_kernelI19rocblas_complex_numIfEiPKS3_PS3_S6_PKS6_EEvT0_S9_S9_T1_bT2_lS9_S9_lbT3_lS9_S9_lSA_T4_lS9_S9_l,@function
_ZN9rocsolver6v33100L11gemm_kernelI19rocblas_complex_numIfEiPKS3_PS3_S6_PKS6_EEvT0_S9_S9_T1_bT2_lS9_S9_lbT3_lS9_S9_lSA_T4_lS9_S9_l: ; @_ZN9rocsolver6v33100L11gemm_kernelI19rocblas_complex_numIfEiPKS3_PS3_S6_PKS6_EEvT0_S9_S9_T1_bT2_lS9_S9_lbT3_lS9_S9_lSA_T4_lS9_S9_l
; %bb.0:
	s_load_dword s9, s[4:5], 0x9c
	s_load_dwordx4 s[0:3], s[4:5], 0x0
	v_and_b32_e32 v1, 0x3ff, v0
	v_bfe_u32 v0, v0, 10, 10
	s_waitcnt lgkmcnt(0)
	s_lshr_b32 s3, s9, 16
	s_and_b32 s9, s9, 0xffff
	s_mul_i32 s6, s6, s9
	s_mul_i32 s7, s7, s3
	v_add_u32_e32 v8, s6, v1
	v_add_u32_e32 v9, s7, v0
	v_cmp_gt_i32_e32 vcc, s0, v8
	v_cmp_gt_i32_e64 s[0:1], s1, v9
	s_and_b64 s[0:1], vcc, s[0:1]
	s_and_saveexec_b64 s[6:7], s[0:1]
	s_cbranch_execz .LBB31_9
; %bb.1:
	s_load_dwordx2 s[10:11], s[4:5], 0x10
	s_load_dwordx8 s[12:19], s[4:5], 0x60
	s_ashr_i32 s9, s8, 31
	s_lshl_b64 s[20:21], s[8:9], 3
	v_mov_b32_e32 v10, 0
	v_mov_b32_e32 v11, 0
	s_waitcnt lgkmcnt(0)
	s_load_dwordx2 s[6:7], s[10:11], 0x0
	s_load_dwordx2 s[0:1], s[14:15], 0x0
	s_add_u32 s10, s16, s20
	s_addc_u32 s11, s17, s21
	s_load_dwordx2 s[10:11], s[10:11], 0x0
	s_cmp_lt_i32 s2, 1
	s_cbranch_scc1 .LBB31_8
; %bb.2:
	s_load_dword s3, s[4:5], 0x18
	s_load_dwordx8 s[20:27], s[4:5], 0x20
	s_load_dword s28, s[4:5], 0x40
	s_load_dwordx4 s[36:39], s[4:5], 0x48
	s_load_dwordx2 s[14:15], s[4:5], 0x58
	s_waitcnt lgkmcnt(0)
	s_bitcmp1_b32 s3, 0
	s_cselect_b64 s[16:17], -1, 0
	s_xor_b64 s[16:17], s[16:17], -1
	s_bitcmp1_b32 s28, 0
	s_mul_i32 s3, s8, s27
	s_mul_hi_u32 s27, s8, s26
	s_cselect_b64 s[28:29], -1, 0
	s_add_i32 s3, s27, s3
	s_mul_i32 s27, s9, s26
	s_add_i32 s27, s3, s27
	s_mul_i32 s26, s8, s26
	s_lshl_b64 s[26:27], s[26:27], 3
	s_add_u32 s3, s20, s26
	s_addc_u32 s26, s21, s27
	s_lshl_b64 s[20:21], s[22:23], 3
	s_add_u32 s3, s3, s20
	s_addc_u32 s20, s26, s21
	s_mul_i32 s13, s8, s13
	s_mul_hi_u32 s21, s8, s12
	s_add_i32 s13, s21, s13
	s_mul_i32 s9, s9, s12
	s_add_i32 s9, s13, s9
	s_mul_i32 s8, s8, s12
	s_lshl_b64 s[8:9], s[8:9], 3
	s_add_u32 s12, s36, s8
	s_addc_u32 s13, s37, s9
	s_lshl_b64 s[8:9], s[38:39], 3
	s_add_u32 s12, s12, s8
	s_addc_u32 s8, s13, s9
	v_mul_lo_u32 v0, v8, s24
	v_mul_lo_u32 v2, v9, s15
	v_mov_b32_e32 v10, 0
	v_mov_b32_e32 v12, s20
	;; [unrolled: 1-line block ×4, first 2 shown]
	s_branch .LBB31_4
.LBB31_3:                               ;   in Loop: Header=BB31_4 Depth=1
	v_ashrrev_i32_e32 v3, 31, v2
	v_lshlrev_b64 v[6:7], 3, v[2:3]
	v_add_co_u32_e32 v6, vcc, s12, v6
	v_addc_co_u32_e32 v7, vcc, v13, v7, vcc
	global_load_dwordx2 v[6:7], v[6:7], off
	s_add_i32 s2, s2, -1
	v_add_u32_e32 v2, s14, v2
	s_cmp_eq_u32 s2, 0
	v_add_u32_e32 v0, s25, v0
	s_waitcnt vmcnt(0)
	v_cndmask_b32_e64 v1, v7, -v7, s[28:29]
	v_mul_f32_e32 v3, v6, v5
	v_mul_f32_e32 v5, v1, v5
	v_fmac_f32_e32 v3, v1, v4
	v_fma_f32 v1, v6, v4, -v5
	v_add_f32_e32 v10, v10, v3
	v_add_f32_e32 v11, v11, v1
	s_cbranch_scc1 .LBB31_8
.LBB31_4:                               ; =>This Inner Loop Header: Depth=1
	v_ashrrev_i32_e32 v1, 31, v0
	v_lshlrev_b64 v[4:5], 3, v[0:1]
	v_add_co_u32_e32 v6, vcc, s3, v4
	v_addc_co_u32_e32 v7, vcc, v12, v5, vcc
	s_and_b64 vcc, exec, s[16:17]
	s_cbranch_vccz .LBB31_6
; %bb.5:                                ;   in Loop: Header=BB31_4 Depth=1
	global_load_dwordx2 v[4:5], v[6:7], off
	s_cbranch_execnz .LBB31_3
	s_branch .LBB31_7
.LBB31_6:                               ;   in Loop: Header=BB31_4 Depth=1
                                        ; implicit-def: $vgpr5
.LBB31_7:                               ;   in Loop: Header=BB31_4 Depth=1
	global_load_dwordx2 v[4:5], v[6:7], off
	s_waitcnt vmcnt(0)
	v_xor_b32_e32 v5, 0x80000000, v5
	s_branch .LBB31_3
.LBB31_8:
	s_load_dwordx2 s[2:3], s[4:5], 0x80
	s_lshl_b64 s[4:5], s[18:19], 3
	s_waitcnt lgkmcnt(0)
	s_add_u32 s4, s10, s4
	s_addc_u32 s5, s11, s5
	v_mov_b32_e32 v2, s5
	v_mul_lo_u32 v0, v8, s2
	v_mad_u64_u32 v[0:1], s[2:3], v9, s3, v[0:1]
	v_ashrrev_i32_e32 v1, 31, v0
	v_lshlrev_b64 v[0:1], 3, v[0:1]
	v_add_co_u32_e32 v0, vcc, s4, v0
	v_addc_co_u32_e32 v1, vcc, v2, v1, vcc
	global_load_dwordx2 v[2:3], v[0:1], off
	v_mul_f32_e32 v4, s7, v10
	v_mul_f32_e32 v5, s6, v10
	v_fma_f32 v4, s6, v11, -v4
	v_fmac_f32_e32 v5, s7, v11
	s_waitcnt vmcnt(0)
	v_mul_f32_e32 v6, s1, v3
	v_mul_f32_e32 v3, s0, v3
	v_fma_f32 v6, s0, v2, -v6
	v_fmac_f32_e32 v3, s1, v2
	v_add_f32_e32 v2, v4, v6
	v_add_f32_e32 v3, v5, v3
	global_store_dwordx2 v[0:1], v[2:3], off
.LBB31_9:
	s_endpgm
	.section	.rodata,"a",@progbits
	.p2align	6, 0x0
	.amdhsa_kernel _ZN9rocsolver6v33100L11gemm_kernelI19rocblas_complex_numIfEiPKS3_PS3_S6_PKS6_EEvT0_S9_S9_T1_bT2_lS9_S9_lbT3_lS9_S9_lSA_T4_lS9_S9_l
		.amdhsa_group_segment_fixed_size 0
		.amdhsa_private_segment_fixed_size 0
		.amdhsa_kernarg_size 400
		.amdhsa_user_sgpr_count 6
		.amdhsa_user_sgpr_private_segment_buffer 1
		.amdhsa_user_sgpr_dispatch_ptr 0
		.amdhsa_user_sgpr_queue_ptr 0
		.amdhsa_user_sgpr_kernarg_segment_ptr 1
		.amdhsa_user_sgpr_dispatch_id 0
		.amdhsa_user_sgpr_flat_scratch_init 0
		.amdhsa_user_sgpr_kernarg_preload_length 0
		.amdhsa_user_sgpr_kernarg_preload_offset 0
		.amdhsa_user_sgpr_private_segment_size 0
		.amdhsa_uses_dynamic_stack 0
		.amdhsa_system_sgpr_private_segment_wavefront_offset 0
		.amdhsa_system_sgpr_workgroup_id_x 1
		.amdhsa_system_sgpr_workgroup_id_y 1
		.amdhsa_system_sgpr_workgroup_id_z 1
		.amdhsa_system_sgpr_workgroup_info 0
		.amdhsa_system_vgpr_workitem_id 1
		.amdhsa_next_free_vgpr 14
		.amdhsa_next_free_sgpr 40
		.amdhsa_accum_offset 16
		.amdhsa_reserve_vcc 1
		.amdhsa_reserve_flat_scratch 0
		.amdhsa_float_round_mode_32 0
		.amdhsa_float_round_mode_16_64 0
		.amdhsa_float_denorm_mode_32 3
		.amdhsa_float_denorm_mode_16_64 3
		.amdhsa_dx10_clamp 1
		.amdhsa_ieee_mode 1
		.amdhsa_fp16_overflow 0
		.amdhsa_tg_split 0
		.amdhsa_exception_fp_ieee_invalid_op 0
		.amdhsa_exception_fp_denorm_src 0
		.amdhsa_exception_fp_ieee_div_zero 0
		.amdhsa_exception_fp_ieee_overflow 0
		.amdhsa_exception_fp_ieee_underflow 0
		.amdhsa_exception_fp_ieee_inexact 0
		.amdhsa_exception_int_div_zero 0
	.end_amdhsa_kernel
	.section	.text._ZN9rocsolver6v33100L11gemm_kernelI19rocblas_complex_numIfEiPKS3_PS3_S6_PKS6_EEvT0_S9_S9_T1_bT2_lS9_S9_lbT3_lS9_S9_lSA_T4_lS9_S9_l,"axG",@progbits,_ZN9rocsolver6v33100L11gemm_kernelI19rocblas_complex_numIfEiPKS3_PS3_S6_PKS6_EEvT0_S9_S9_T1_bT2_lS9_S9_lbT3_lS9_S9_lSA_T4_lS9_S9_l,comdat
.Lfunc_end31:
	.size	_ZN9rocsolver6v33100L11gemm_kernelI19rocblas_complex_numIfEiPKS3_PS3_S6_PKS6_EEvT0_S9_S9_T1_bT2_lS9_S9_lbT3_lS9_S9_lSA_T4_lS9_S9_l, .Lfunc_end31-_ZN9rocsolver6v33100L11gemm_kernelI19rocblas_complex_numIfEiPKS3_PS3_S6_PKS6_EEvT0_S9_S9_T1_bT2_lS9_S9_lbT3_lS9_S9_lSA_T4_lS9_S9_l
                                        ; -- End function
	.section	.AMDGPU.csdata,"",@progbits
; Kernel info:
; codeLenInByte = 652
; NumSgprs: 44
; NumVgprs: 14
; NumAgprs: 0
; TotalNumVgprs: 14
; ScratchSize: 0
; MemoryBound: 0
; FloatMode: 240
; IeeeMode: 1
; LDSByteSize: 0 bytes/workgroup (compile time only)
; SGPRBlocks: 5
; VGPRBlocks: 1
; NumSGPRsForWavesPerEU: 44
; NumVGPRsForWavesPerEU: 14
; AccumOffset: 16
; Occupancy: 8
; WaveLimiterHint : 1
; COMPUTE_PGM_RSRC2:SCRATCH_EN: 0
; COMPUTE_PGM_RSRC2:USER_SGPR: 6
; COMPUTE_PGM_RSRC2:TRAP_HANDLER: 0
; COMPUTE_PGM_RSRC2:TGID_X_EN: 1
; COMPUTE_PGM_RSRC2:TGID_Y_EN: 1
; COMPUTE_PGM_RSRC2:TGID_Z_EN: 1
; COMPUTE_PGM_RSRC2:TIDIG_COMP_CNT: 1
; COMPUTE_PGM_RSRC3_GFX90A:ACCUM_OFFSET: 3
; COMPUTE_PGM_RSRC3_GFX90A:TG_SPLIT: 0
	.section	.text._ZN9rocsolver6v33100L11gemm_kernelI19rocblas_complex_numIfEiS3_PS3_S4_PKS4_EEvT0_S7_S7_T1_bT2_lS7_S7_lbT3_lS7_S7_lS8_T4_lS7_S7_l,"axG",@progbits,_ZN9rocsolver6v33100L11gemm_kernelI19rocblas_complex_numIfEiS3_PS3_S4_PKS4_EEvT0_S7_S7_T1_bT2_lS7_S7_lbT3_lS7_S7_lS8_T4_lS7_S7_l,comdat
	.globl	_ZN9rocsolver6v33100L11gemm_kernelI19rocblas_complex_numIfEiS3_PS3_S4_PKS4_EEvT0_S7_S7_T1_bT2_lS7_S7_lbT3_lS7_S7_lS8_T4_lS7_S7_l ; -- Begin function _ZN9rocsolver6v33100L11gemm_kernelI19rocblas_complex_numIfEiS3_PS3_S4_PKS4_EEvT0_S7_S7_T1_bT2_lS7_S7_lbT3_lS7_S7_lS8_T4_lS7_S7_l
	.p2align	8
	.type	_ZN9rocsolver6v33100L11gemm_kernelI19rocblas_complex_numIfEiS3_PS3_S4_PKS4_EEvT0_S7_S7_T1_bT2_lS7_S7_lbT3_lS7_S7_lS8_T4_lS7_S7_l,@function
_ZN9rocsolver6v33100L11gemm_kernelI19rocblas_complex_numIfEiS3_PS3_S4_PKS4_EEvT0_S7_S7_T1_bT2_lS7_S7_lbT3_lS7_S7_lS8_T4_lS7_S7_l: ; @_ZN9rocsolver6v33100L11gemm_kernelI19rocblas_complex_numIfEiS3_PS3_S4_PKS4_EEvT0_S7_S7_T1_bT2_lS7_S7_lbT3_lS7_S7_lS8_T4_lS7_S7_l
; %bb.0:
	s_load_dword s9, s[4:5], 0x94
	s_load_dwordx4 s[0:3], s[4:5], 0x0
	v_and_b32_e32 v1, 0x3ff, v0
	v_bfe_u32 v0, v0, 10, 10
	s_waitcnt lgkmcnt(0)
	s_lshr_b32 s10, s9, 16
	s_and_b32 s9, s9, 0xffff
	s_mul_i32 s6, s6, s9
	s_mul_i32 s7, s7, s10
	v_add_u32_e32 v8, s6, v1
	v_add_u32_e32 v9, s7, v0
	v_cmp_gt_i32_e32 vcc, s0, v8
	v_cmp_gt_i32_e64 s[0:1], s1, v9
	s_and_b64 s[0:1], vcc, s[0:1]
	s_and_saveexec_b64 s[6:7], s[0:1]
	s_cbranch_execz .LBB32_9
; %bb.1:
	s_load_dwordx4 s[28:31], s[4:5], 0x68
	s_load_dwordx2 s[6:7], s[4:5], 0x10
	s_load_dwordx2 s[0:1], s[4:5], 0x60
	s_ashr_i32 s9, s8, 31
	s_lshl_b64 s[10:11], s[8:9], 3
	s_waitcnt lgkmcnt(0)
	s_add_u32 s10, s28, s10
	s_addc_u32 s11, s29, s11
	s_load_dwordx2 s[10:11], s[10:11], 0x0
	s_cmp_lt_i32 s2, 1
	v_mov_b32_e32 v10, 0
	v_mov_b32_e32 v11, 0
	s_cbranch_scc1 .LBB32_8
; %bb.2:
	s_bitcmp1_b32 s7, 0
	s_load_dword s7, s[4:5], 0x38
	s_load_dwordx8 s[12:19], s[4:5], 0x18
	s_cselect_b64 s[20:21], -1, 0
	s_xor_b64 s[28:29], s[20:21], -1
	s_load_dwordx8 s[20:27], s[4:5], 0x40
	s_waitcnt lgkmcnt(0)
	s_bitcmp1_b32 s7, 0
	s_mul_i32 s7, s8, s19
	s_mul_hi_u32 s19, s8, s18
	s_cselect_b64 s[34:35], -1, 0
	s_add_i32 s7, s19, s7
	s_mul_i32 s19, s9, s18
	s_add_i32 s19, s7, s19
	s_mul_i32 s18, s8, s18
	s_lshl_b64 s[18:19], s[18:19], 3
	s_add_u32 s7, s12, s18
	s_addc_u32 s18, s13, s19
	s_lshl_b64 s[12:13], s[14:15], 3
	s_add_u32 s7, s7, s12
	s_mul_i32 s12, s8, s27
	s_mul_hi_u32 s14, s8, s26
	s_addc_u32 s13, s18, s13
	s_add_i32 s12, s14, s12
	s_mul_i32 s9, s9, s26
	s_add_i32 s9, s12, s9
	s_mul_i32 s8, s8, s26
	s_lshl_b64 s[8:9], s[8:9], 3
	s_add_u32 s12, s20, s8
	s_addc_u32 s14, s21, s9
	s_lshl_b64 s[8:9], s[22:23], 3
	s_add_u32 s12, s12, s8
	s_addc_u32 s8, s14, s9
	v_mul_lo_u32 v0, v8, s16
	v_mul_lo_u32 v2, v9, s25
	v_mov_b32_e32 v10, 0
	v_mov_b32_e32 v12, s13
	;; [unrolled: 1-line block ×4, first 2 shown]
	s_branch .LBB32_4
.LBB32_3:                               ;   in Loop: Header=BB32_4 Depth=1
	v_ashrrev_i32_e32 v3, 31, v2
	v_lshlrev_b64 v[6:7], 3, v[2:3]
	v_add_co_u32_e32 v6, vcc, s12, v6
	v_addc_co_u32_e32 v7, vcc, v13, v7, vcc
	global_load_dwordx2 v[6:7], v[6:7], off
	s_add_i32 s2, s2, -1
	v_add_u32_e32 v2, s24, v2
	s_cmp_eq_u32 s2, 0
	v_add_u32_e32 v0, s17, v0
	s_waitcnt vmcnt(0)
	v_cndmask_b32_e64 v1, v7, -v7, s[34:35]
	v_mul_f32_e32 v3, v6, v5
	v_mul_f32_e32 v5, v1, v5
	v_fmac_f32_e32 v3, v1, v4
	v_fma_f32 v1, v6, v4, -v5
	v_add_f32_e32 v10, v10, v3
	v_add_f32_e32 v11, v11, v1
	s_cbranch_scc1 .LBB32_8
.LBB32_4:                               ; =>This Inner Loop Header: Depth=1
	v_ashrrev_i32_e32 v1, 31, v0
	v_lshlrev_b64 v[4:5], 3, v[0:1]
	v_add_co_u32_e32 v6, vcc, s7, v4
	v_addc_co_u32_e32 v7, vcc, v12, v5, vcc
	s_and_b64 vcc, exec, s[28:29]
	s_cbranch_vccz .LBB32_6
; %bb.5:                                ;   in Loop: Header=BB32_4 Depth=1
	global_load_dwordx2 v[4:5], v[6:7], off
	s_cbranch_execnz .LBB32_3
	s_branch .LBB32_7
.LBB32_6:                               ;   in Loop: Header=BB32_4 Depth=1
                                        ; implicit-def: $vgpr5
.LBB32_7:                               ;   in Loop: Header=BB32_4 Depth=1
	global_load_dwordx2 v[4:5], v[6:7], off
	s_waitcnt vmcnt(0)
	v_xor_b32_e32 v5, 0x80000000, v5
	s_branch .LBB32_3
.LBB32_8:
	s_load_dwordx2 s[4:5], s[4:5], 0x78
	s_lshl_b64 s[8:9], s[30:31], 3
	s_waitcnt lgkmcnt(0)
	s_add_u32 s2, s10, s8
	s_addc_u32 s7, s11, s9
	v_mov_b32_e32 v2, s7
	v_mul_lo_u32 v0, v8, s4
	v_mad_u64_u32 v[0:1], s[4:5], v9, s5, v[0:1]
	v_ashrrev_i32_e32 v1, 31, v0
	v_lshlrev_b64 v[0:1], 3, v[0:1]
	v_add_co_u32_e32 v0, vcc, s2, v0
	v_addc_co_u32_e32 v1, vcc, v2, v1, vcc
	global_load_dwordx2 v[2:3], v[0:1], off
	v_mul_f32_e32 v4, s6, v10
	v_mul_f32_e32 v5, s3, v10
	v_fma_f32 v4, s3, v11, -v4
	v_fmac_f32_e32 v5, s6, v11
	s_waitcnt vmcnt(0)
	v_mul_f32_e32 v6, s1, v3
	v_mul_f32_e32 v3, s0, v3
	v_fma_f32 v6, s0, v2, -v6
	v_fmac_f32_e32 v3, s1, v2
	v_add_f32_e32 v2, v4, v6
	v_add_f32_e32 v3, v5, v3
	global_store_dwordx2 v[0:1], v[2:3], off
.LBB32_9:
	s_endpgm
	.section	.rodata,"a",@progbits
	.p2align	6, 0x0
	.amdhsa_kernel _ZN9rocsolver6v33100L11gemm_kernelI19rocblas_complex_numIfEiS3_PS3_S4_PKS4_EEvT0_S7_S7_T1_bT2_lS7_S7_lbT3_lS7_S7_lS8_T4_lS7_S7_l
		.amdhsa_group_segment_fixed_size 0
		.amdhsa_private_segment_fixed_size 0
		.amdhsa_kernarg_size 392
		.amdhsa_user_sgpr_count 6
		.amdhsa_user_sgpr_private_segment_buffer 1
		.amdhsa_user_sgpr_dispatch_ptr 0
		.amdhsa_user_sgpr_queue_ptr 0
		.amdhsa_user_sgpr_kernarg_segment_ptr 1
		.amdhsa_user_sgpr_dispatch_id 0
		.amdhsa_user_sgpr_flat_scratch_init 0
		.amdhsa_user_sgpr_kernarg_preload_length 0
		.amdhsa_user_sgpr_kernarg_preload_offset 0
		.amdhsa_user_sgpr_private_segment_size 0
		.amdhsa_uses_dynamic_stack 0
		.amdhsa_system_sgpr_private_segment_wavefront_offset 0
		.amdhsa_system_sgpr_workgroup_id_x 1
		.amdhsa_system_sgpr_workgroup_id_y 1
		.amdhsa_system_sgpr_workgroup_id_z 1
		.amdhsa_system_sgpr_workgroup_info 0
		.amdhsa_system_vgpr_workitem_id 1
		.amdhsa_next_free_vgpr 14
		.amdhsa_next_free_sgpr 36
		.amdhsa_accum_offset 16
		.amdhsa_reserve_vcc 1
		.amdhsa_reserve_flat_scratch 0
		.amdhsa_float_round_mode_32 0
		.amdhsa_float_round_mode_16_64 0
		.amdhsa_float_denorm_mode_32 3
		.amdhsa_float_denorm_mode_16_64 3
		.amdhsa_dx10_clamp 1
		.amdhsa_ieee_mode 1
		.amdhsa_fp16_overflow 0
		.amdhsa_tg_split 0
		.amdhsa_exception_fp_ieee_invalid_op 0
		.amdhsa_exception_fp_denorm_src 0
		.amdhsa_exception_fp_ieee_div_zero 0
		.amdhsa_exception_fp_ieee_overflow 0
		.amdhsa_exception_fp_ieee_underflow 0
		.amdhsa_exception_fp_ieee_inexact 0
		.amdhsa_exception_int_div_zero 0
	.end_amdhsa_kernel
	.section	.text._ZN9rocsolver6v33100L11gemm_kernelI19rocblas_complex_numIfEiS3_PS3_S4_PKS4_EEvT0_S7_S7_T1_bT2_lS7_S7_lbT3_lS7_S7_lS8_T4_lS7_S7_l,"axG",@progbits,_ZN9rocsolver6v33100L11gemm_kernelI19rocblas_complex_numIfEiS3_PS3_S4_PKS4_EEvT0_S7_S7_T1_bT2_lS7_S7_lbT3_lS7_S7_lS8_T4_lS7_S7_l,comdat
.Lfunc_end32:
	.size	_ZN9rocsolver6v33100L11gemm_kernelI19rocblas_complex_numIfEiS3_PS3_S4_PKS4_EEvT0_S7_S7_T1_bT2_lS7_S7_lbT3_lS7_S7_lS8_T4_lS7_S7_l, .Lfunc_end32-_ZN9rocsolver6v33100L11gemm_kernelI19rocblas_complex_numIfEiS3_PS3_S4_PKS4_EEvT0_S7_S7_T1_bT2_lS7_S7_lbT3_lS7_S7_lS8_T4_lS7_S7_l
                                        ; -- End function
	.section	.AMDGPU.csdata,"",@progbits
; Kernel info:
; codeLenInByte = 628
; NumSgprs: 40
; NumVgprs: 14
; NumAgprs: 0
; TotalNumVgprs: 14
; ScratchSize: 0
; MemoryBound: 0
; FloatMode: 240
; IeeeMode: 1
; LDSByteSize: 0 bytes/workgroup (compile time only)
; SGPRBlocks: 4
; VGPRBlocks: 1
; NumSGPRsForWavesPerEU: 40
; NumVGPRsForWavesPerEU: 14
; AccumOffset: 16
; Occupancy: 8
; WaveLimiterHint : 1
; COMPUTE_PGM_RSRC2:SCRATCH_EN: 0
; COMPUTE_PGM_RSRC2:USER_SGPR: 6
; COMPUTE_PGM_RSRC2:TRAP_HANDLER: 0
; COMPUTE_PGM_RSRC2:TGID_X_EN: 1
; COMPUTE_PGM_RSRC2:TGID_Y_EN: 1
; COMPUTE_PGM_RSRC2:TGID_Z_EN: 1
; COMPUTE_PGM_RSRC2:TIDIG_COMP_CNT: 1
; COMPUTE_PGM_RSRC3_GFX90A:ACCUM_OFFSET: 3
; COMPUTE_PGM_RSRC3_GFX90A:TG_SPLIT: 0
	.section	.text._ZN9rocsolver6v33100L16mfma_gemm_kernelI19rocblas_complex_numIfElPKS3_PS3_S6_S6_EEv18rocblas_operation_S7_T0_S8_S8_T1_T2_lS8_S8_lT3_lS8_S8_lS9_T4_lS8_S8_l,"axG",@progbits,_ZN9rocsolver6v33100L16mfma_gemm_kernelI19rocblas_complex_numIfElPKS3_PS3_S6_S6_EEv18rocblas_operation_S7_T0_S8_S8_T1_T2_lS8_S8_lT3_lS8_S8_lS9_T4_lS8_S8_l,comdat
	.globl	_ZN9rocsolver6v33100L16mfma_gemm_kernelI19rocblas_complex_numIfElPKS3_PS3_S6_S6_EEv18rocblas_operation_S7_T0_S8_S8_T1_T2_lS8_S8_lT3_lS8_S8_lS9_T4_lS8_S8_l ; -- Begin function _ZN9rocsolver6v33100L16mfma_gemm_kernelI19rocblas_complex_numIfElPKS3_PS3_S6_S6_EEv18rocblas_operation_S7_T0_S8_S8_T1_T2_lS8_S8_lT3_lS8_S8_lS9_T4_lS8_S8_l
	.p2align	8
	.type	_ZN9rocsolver6v33100L16mfma_gemm_kernelI19rocblas_complex_numIfElPKS3_PS3_S6_S6_EEv18rocblas_operation_S7_T0_S8_S8_T1_T2_lS8_S8_lT3_lS8_S8_lS9_T4_lS8_S8_l,@function
_ZN9rocsolver6v33100L16mfma_gemm_kernelI19rocblas_complex_numIfElPKS3_PS3_S6_S6_EEv18rocblas_operation_S7_T0_S8_S8_T1_T2_lS8_S8_lT3_lS8_S8_lS9_T4_lS8_S8_l: ; @_ZN9rocsolver6v33100L16mfma_gemm_kernelI19rocblas_complex_numIfElPKS3_PS3_S6_S6_EEv18rocblas_operation_S7_T0_S8_S8_T1_T2_lS8_S8_lT3_lS8_S8_lS9_T4_lS8_S8_l
; %bb.0:
	s_load_dword s0, s[6:7], 0xb4
	s_load_dwordx16 s[36:51], s[6:7], 0x8
	v_and_b32_e32 v1, 0x3ff, v0
	v_lshrrev_b32_e32 v2, 6, v1
	v_mov_b32_e32 v3, 0
	s_waitcnt lgkmcnt(0)
	s_lshr_b32 s2, s0, 16
	s_bfe_u32 s0, s0, 0xa0006
	v_mov_b32_e32 v4, s8
	v_bfe_u32 v8, v0, 10, 10
	v_mov_b32_e32 v9, v3
	v_mad_u64_u32 v[16:17], s[0:1], s0, v4, v[2:3]
	v_mov_b32_e32 v2, s9
	v_mad_u64_u32 v[20:21], s[0:1], s2, v2, v[8:9]
	v_lshlrev_b64 v[4:5], 4, v[16:17]
	v_lshlrev_b64 v[6:7], 4, v[20:21]
	v_cmp_gt_i64_e32 vcc, s[36:37], v[4:5]
	v_cmp_gt_i64_e64 s[0:1], s[38:39], v[6:7]
	s_and_b64 s[0:1], vcc, s[0:1]
	s_and_saveexec_b64 s[2:3], s[0:1]
	s_cbranch_execz .LBB33_37
; %bb.1:
	s_load_dwordx2 s[0:1], s[4:5], 0x4
	s_load_dwordx16 s[12:27], s[6:7], 0x48
	v_bfe_u32 v0, v0, 20, 10
	v_bfe_u32 v10, v1, 2, 4
	v_mov_b32_e32 v11, v3
	s_waitcnt lgkmcnt(0)
	s_lshr_b32 s0, s0, 16
	s_mul_i32 s0, s0, s1
	v_mul_u32_u24_e32 v2, s1, v8
	v_mul_lo_u32 v8, s0, v1
	v_add3_u32 v0, v8, v2, v0
	v_add_co_u32_e32 v8, vcc, 16, v4
	v_addc_co_u32_e32 v9, vcc, 0, v5, vcc
	s_and_b32 s0, s36, 15
	v_mul_lo_u32 v30, v0, 20
	v_mov_b32_e32 v0, s0
	v_cmp_lt_u64_e32 vcc, s[36:37], v[8:9]
	v_cndmask_b32_e32 v2, 16, v0, vcc
	v_add_co_u32_e32 v8, vcc, 16, v6
	s_load_dwordx2 s[30:31], s[42:43], 0x0
	s_load_dwordx2 s[28:29], s[24:25], 0x0
	v_addc_co_u32_e32 v9, vcc, 0, v7, vcc
	s_and_b32 s0, s38, 15
	v_mov_b32_e32 v0, s0
	v_cmp_lt_u64_e32 vcc, s[38:39], v[8:9]
	v_cndmask_b32_e32 v8, 16, v0, vcc
	v_mov_b32_e32 v9, v3
	v_cmp_lt_i64_e64 s[0:1], s[40:41], 1
	v_and_b32_e32 v19, 63, v1
	v_and_b32_e32 v28, 3, v1
	s_and_b64 vcc, exec, s[0:1]
	v_cmp_lt_u64_e64 s[0:1], v[10:11], v[8:9]
	v_mbcnt_lo_u32_b32 v29, -1, 0
	v_mov_b32_e32 v13, v3
	v_mov_b32_e32 v0, v3
	;; [unrolled: 1-line block ×8, first 2 shown]
	ds_write2_b32 v30, v3, v3 offset0:2 offset1:3
	ds_write2_b32 v30, v3, v3 offset1:1
	ds_write_b32 v30, v3 offset:16
	s_cbranch_vccnz .LBB33_29
; %bb.2:
	s_load_dwordx2 s[38:39], s[6:7], 0x0
	v_lshrrev_b32_e32 v14, 4, v19
	s_mul_i32 s13, s13, s10
	v_and_b32_e32 v0, 15, v19
	v_mov_b32_e32 v1, 0
	s_waitcnt lgkmcnt(0)
	s_cmpk_lg_i32 s38, 0x6f
	s_cselect_b64 s[24:25], -1, 0
	s_cmpk_lg_i32 s39, 0x6f
	s_cselect_b64 s[34:35], -1, 0
	s_cmpk_eq_i32 s39, 0x6f
	s_cselect_b32 s11, s20, s18
	s_cselect_b32 s33, s21, s19
	s_cmpk_eq_i32 s38, 0x6f
	s_cselect_b32 s52, s48, s50
	s_cselect_b32 s53, s49, s51
	s_cmpk_eq_i32 s38, 0x71
	s_cselect_b64 s[36:37], -1, 0
	s_cmpk_eq_i32 s39, 0x71
	s_cselect_b64 s[38:39], -1, 0
	s_lshl_b64 s[42:43], s[46:47], 3
	v_mul_lo_u32 v15, s53, v16
	v_mul_lo_u32 v17, s52, v17
	v_mad_u64_u32 v[12:13], s[46:47], s52, v16, 0
	v_add3_u32 v13, v13, v17, v15
	v_mad_u64_u32 v[16:17], s[46:47], s50, v14, 0
	v_mov_b32_e32 v18, v17
	v_mad_u64_u32 v[22:23], s[46:47], s51, v14, v[18:19]
	v_mov_b32_e32 v17, v22
	v_lshlrev_b64 v[12:13], 7, v[12:13]
	v_lshlrev_b64 v[16:17], 3, v[16:17]
	s_mul_hi_u32 s46, s12, s10
	v_add_co_u32_e32 v15, vcc, v12, v16
	s_add_i32 s13, s46, s13
	s_mul_i32 s12, s12, s10
	v_addc_co_u32_e32 v16, vcc, v13, v17, vcc
	s_lshl_b64 s[46:47], s[12:13], 3
	v_mov_b32_e32 v27, s47
	v_add_co_u32_e32 v15, vcc, s46, v15
	v_addc_co_u32_e32 v24, vcc, v16, v27, vcc
	v_mad_u64_u32 v[16:17], s[12:13], s48, v0, 0
	v_mov_b32_e32 v18, v17
	v_mad_u64_u32 v[22:23], s[12:13], s49, v0, v[18:19]
	v_mov_b32_e32 v17, v22
	v_lshlrev_b64 v[16:17], 3, v[16:17]
	v_add_co_u32_e32 v15, vcc, v15, v16
	v_addc_co_u32_e32 v17, vcc, v24, v17, vcc
	v_mov_b32_e32 v18, s45
	v_add_co_u32_e32 v16, vcc, s44, v15
	v_mad_u64_u32 v[22:23], s[52:53], s50, v10, 0
	v_addc_co_u32_e32 v15, vcc, v18, v17, vcc
	v_mov_b32_e32 v18, v23
	s_lshl_b64 s[12:13], s[50:51], 5
	v_mad_u64_u32 v[24:25], s[50:51], s51, v10, v[18:19]
	v_mov_b32_e32 v23, v24
	v_lshlrev_b64 v[22:23], 3, v[22:23]
	v_add_co_u32_e32 v12, vcc, v12, v22
	v_addc_co_u32_e32 v13, vcc, v13, v23, vcc
	v_add_co_u32_e32 v17, vcc, s46, v12
	v_addc_co_u32_e32 v24, vcc, v13, v27, vcc
	v_mad_u64_u32 v[12:13], s[46:47], s48, v28, 0
	v_mov_b32_e32 v18, v13
	v_mad_u64_u32 v[22:23], s[46:47], s49, v28, v[18:19]
	v_mov_b32_e32 v13, v22
	v_lshlrev_b64 v[12:13], 3, v[12:13]
	v_add_co_u32_e32 v12, vcc, v17, v12
	v_addc_co_u32_e32 v13, vcc, v24, v13, vcc
	v_mov_b32_e32 v17, s45
	v_add_co_u32_e32 v18, vcc, s44, v12
	v_addc_co_u32_e32 v17, vcc, v17, v13, vcc
	v_mul_lo_u32 v22, s33, v20
	v_mul_lo_u32 v21, s11, v21
	v_mad_u64_u32 v[12:13], s[46:47], s11, v20, 0
	v_add3_u32 v13, v13, v21, v22
	v_mad_u64_u32 v[20:21], s[46:47], s20, v10, 0
	v_mov_b32_e32 v22, v21
	v_mad_u64_u32 v[22:23], s[46:47], s21, v10, v[22:23]
	v_mov_b32_e32 v21, v22
	v_lshlrev_b64 v[12:13], 7, v[12:13]
	v_lshlrev_b64 v[20:21], 3, v[20:21]
	s_mul_i32 s11, s23, s10
	s_mul_hi_u32 s23, s22, s10
	v_add_co_u32_e32 v20, vcc, v12, v20
	s_add_i32 s23, s23, s11
	s_mul_i32 s22, s22, s10
	v_addc_co_u32_e32 v21, vcc, v13, v21, vcc
	s_lshl_b64 s[22:23], s[22:23], 3
	v_mov_b32_e32 v27, s23
	v_add_co_u32_e32 v24, vcc, s22, v20
	v_addc_co_u32_e32 v25, vcc, v21, v27, vcc
	v_mad_u64_u32 v[20:21], s[46:47], s18, v28, 0
	v_mov_b32_e32 v22, v21
	v_mad_u64_u32 v[22:23], s[46:47], s19, v28, v[22:23]
	v_mov_b32_e32 v21, v22
	s_lshl_b64 s[44:45], s[48:49], 5
	v_lshlrev_b64 v[20:21], 3, v[20:21]
	s_lshl_b64 s[16:17], s[16:17], 3
	v_add_co_u32_e32 v20, vcc, v24, v20
	s_add_u32 s11, s14, s16
	v_addc_co_u32_e32 v21, vcc, v25, v21, vcc
	s_addc_u32 s23, s15, s17
	v_mov_b32_e32 v22, s23
	v_add_co_u32_e32 v20, vcc, s11, v20
	v_addc_co_u32_e32 v21, vcc, v22, v21, vcc
	v_mad_u64_u32 v[22:23], s[16:17], s20, v14, 0
	v_mov_b32_e32 v24, v23
	v_mad_u64_u32 v[24:25], s[16:17], s21, v14, v[24:25]
	v_mov_b32_e32 v23, v24
	v_lshlrev_b64 v[22:23], 3, v[22:23]
	v_add_co_u32_e32 v12, vcc, v12, v22
	v_addc_co_u32_e32 v13, vcc, v13, v23, vcc
	v_add_co_u32_e32 v24, vcc, s22, v12
	v_addc_co_u32_e32 v25, vcc, v13, v27, vcc
	v_mad_u64_u32 v[12:13], s[16:17], s18, v0, 0
	v_mov_b32_e32 v22, v13
	v_mad_u64_u32 v[22:23], s[16:17], s19, v0, v[22:23]
	v_mov_b32_e32 v13, v22
	v_lshlrev_b64 v[12:13], 3, v[12:13]
	v_lshl_or_b32 v26, v0, 2, v14
	v_cmp_lt_u64_e64 s[4:5], v[0:1], v[2:3]
	v_cmp_lt_u64_e64 s[8:9], v[0:1], v[8:9]
	v_add_co_u32_e32 v0, vcc, v24, v12
	v_addc_co_u32_e32 v12, vcc, v25, v13, vcc
	v_add_co_u32_e32 v22, vcc, s11, v0
	v_mbcnt_hi_u32_b32 v0, -1, v29
	v_mov_b32_e32 v13, s23
	v_and_or_b32 v0, v0, 64, v26
	v_cmp_lt_u64_e64 s[2:3], v[10:11], v[2:3]
	s_lshl_b64 s[14:15], s[18:19], 5
	v_addc_co_u32_e32 v23, vcc, v13, v12, vcc
	s_lshl_b64 s[16:17], s[20:21], 5
	s_mov_b64 s[18:19], 0
	v_lshlrev_b32_e32 v31, 2, v0
	v_mov_b32_e32 v12, v1
	v_mov_b32_e32 v0, v1
	;; [unrolled: 1-line block ×3, first 2 shown]
	s_branch .LBB33_6
.LBB33_3:                               ;   in Loop: Header=BB33_6 Depth=1
	s_or_b64 exec, exec, s[22:23]
.LBB33_4:                               ;   in Loop: Header=BB33_6 Depth=1
	s_or_b64 exec, exec, s[20:21]
	s_waitcnt vmcnt(0)
	ds_bpermute_b32 v26, v31, v26
	ds_bpermute_b32 v27, v31, v27
.LBB33_5:                               ;   in Loop: Header=BB33_6 Depth=1
	s_waitcnt vmcnt(0) lgkmcnt(0)
	v_cndmask_b32_e64 v50, v25, -v25, s[36:37]
	v_cndmask_b32_e64 v27, v27, -v27, s[38:39]
	v_mfma_f32_16x16x4f32 v[32:35], v24, v26, 0
	v_add_co_u32_e32 v16, vcc, s12, v16
	s_add_u32 s18, s18, 4
	s_addc_u32 s19, s19, 0
	v_mfma_f32_16x16x4f32 v[40:43], v50, v27, 0
	v_mfma_f32_16x16x4f32 v[36:39], v24, v27, 0
	ds_read2_b32 v[24:25], v30 offset1:1
	ds_read2_b32 v[44:45], v30 offset0:3 offset1:4
	ds_read2_b32 v[46:47], v30 offset0:2 offset1:3
	;; [unrolled: 1-line block ×3, first 2 shown]
	s_nop 5
	v_sub_f32_e32 v35, v35, v43
	v_sub_f32_e32 v34, v34, v42
	v_sub_f32_e32 v33, v33, v41
	v_sub_f32_e32 v32, v32, v40
	s_waitcnt lgkmcnt(1)
	v_mov_b32_e32 v25, v46
	v_pk_add_f32 v[24:25], v[24:25], v[32:33]
	v_pk_add_f32 v[12:13], v[12:13], v[34:35]
	v_mfma_f32_16x16x4f32 v[32:35], v50, v26, 0
	s_waitcnt lgkmcnt(0)
	v_mov_b32_e32 v49, v44
	s_nop 7
	s_nop 0
	v_pk_add_f32 v[26:27], v[38:39], v[34:35]
	v_pk_add_f32 v[32:33], v[36:37], v[32:33]
	;; [unrolled: 1-line block ×4, first 2 shown]
	ds_write2_b32 v30, v24, v26 offset1:1
	ds_write2_b32 v30, v25, v27 offset0:2 offset1:3
	ds_write_b32 v30, v12 offset:16
	v_mov_b32_e32 v24, s13
	v_addc_co_u32_e32 v15, vcc, v15, v24, vcc
	v_mov_b32_e32 v24, s45
	v_add_co_u32_e32 v18, vcc, s44, v18
	v_addc_co_u32_e32 v17, vcc, v17, v24, vcc
	v_mov_b32_e32 v24, s15
	v_add_co_u32_e32 v20, vcc, s14, v20
	;; [unrolled: 3-line block ×3, first 2 shown]
	v_addc_co_u32_e32 v23, vcc, v23, v24, vcc
	v_pk_mov_b32 v[32:33], s[40:41], s[40:41] op_sel:[0,1]
	v_cmp_ge_i64_e32 vcc, s[18:19], v[32:33]
	s_cbranch_vccnz .LBB33_28
.LBB33_6:                               ; =>This Inner Loop Header: Depth=1
	s_and_b64 vcc, exec, s[24:25]
	s_cbranch_vccz .LBB33_18
; %bb.7:                                ;   in Loop: Header=BB33_6 Depth=1
	v_mov_b32_e32 v24, 0
	v_mov_b32_e32 v25, 0
	s_and_saveexec_b64 s[20:21], s[2:3]
	s_cbranch_execz .LBB33_11
; %bb.8:                                ;   in Loop: Header=BB33_6 Depth=1
	v_mov_b32_e32 v25, s19
	v_add_co_u32_e32 v24, vcc, s18, v28
	v_addc_co_u32_e32 v25, vcc, 0, v25, vcc
	v_cmp_gt_i64_e32 vcc, s[40:41], v[24:25]
	v_mov_b32_e32 v25, 0
	v_mov_b32_e32 v24, 0
	s_and_saveexec_b64 s[22:23], vcc
	s_cbranch_execz .LBB33_10
; %bb.9:                                ;   in Loop: Header=BB33_6 Depth=1
	v_mov_b32_e32 v25, s43
	v_add_co_u32_e32 v24, vcc, s42, v18
	v_addc_co_u32_e32 v25, vcc, v17, v25, vcc
	global_load_dwordx2 v[24:25], v[24:25], off
.LBB33_10:                              ;   in Loop: Header=BB33_6 Depth=1
	s_or_b64 exec, exec, s[22:23]
.LBB33_11:                              ;   in Loop: Header=BB33_6 Depth=1
	s_or_b64 exec, exec, s[20:21]
	s_waitcnt vmcnt(0)
	ds_bpermute_b32 v24, v31, v24
	ds_bpermute_b32 v25, v31, v25
.LBB33_12:                              ;   in Loop: Header=BB33_6 Depth=1
	s_and_b64 vcc, exec, s[34:35]
	s_cbranch_vccz .LBB33_24
.LBB33_13:                              ;   in Loop: Header=BB33_6 Depth=1
	v_mov_b32_e32 v27, 0
	v_mov_b32_e32 v26, 0
	s_and_saveexec_b64 s[20:21], s[8:9]
	s_cbranch_execz .LBB33_17
; %bb.14:                               ;   in Loop: Header=BB33_6 Depth=1
	v_mov_b32_e32 v27, s19
	v_add_co_u32_e32 v26, vcc, s18, v14
	v_addc_co_u32_e32 v27, vcc, 0, v27, vcc
	v_cmp_gt_i64_e32 vcc, s[40:41], v[26:27]
	v_mov_b32_e32 v27, 0
	v_mov_b32_e32 v26, 0
	s_and_saveexec_b64 s[22:23], vcc
	s_cbranch_execz .LBB33_16
; %bb.15:                               ;   in Loop: Header=BB33_6 Depth=1
	global_load_dwordx2 v[26:27], v[22:23], off
.LBB33_16:                              ;   in Loop: Header=BB33_6 Depth=1
	s_or_b64 exec, exec, s[22:23]
.LBB33_17:                              ;   in Loop: Header=BB33_6 Depth=1
	s_or_b64 exec, exec, s[20:21]
	s_cbranch_execnz .LBB33_5
	s_branch .LBB33_25
.LBB33_18:                              ;   in Loop: Header=BB33_6 Depth=1
                                        ; implicit-def: $vgpr25
	s_cbranch_execz .LBB33_12
; %bb.19:                               ;   in Loop: Header=BB33_6 Depth=1
	s_waitcnt lgkmcnt(0)
	v_mov_b32_e32 v25, 0
	v_mov_b32_e32 v24, 0
	s_and_saveexec_b64 s[20:21], s[4:5]
	s_cbranch_execz .LBB33_23
; %bb.20:                               ;   in Loop: Header=BB33_6 Depth=1
	v_mov_b32_e32 v25, s19
	v_add_co_u32_e32 v24, vcc, s18, v14
	v_addc_co_u32_e32 v25, vcc, 0, v25, vcc
	v_cmp_gt_i64_e32 vcc, s[40:41], v[24:25]
	v_mov_b32_e32 v25, 0
	v_mov_b32_e32 v24, 0
	s_and_saveexec_b64 s[22:23], vcc
	s_cbranch_execz .LBB33_22
; %bb.21:                               ;   in Loop: Header=BB33_6 Depth=1
	v_mov_b32_e32 v25, s43
	v_add_co_u32_e32 v24, vcc, s42, v16
	v_addc_co_u32_e32 v25, vcc, v15, v25, vcc
	global_load_dwordx2 v[24:25], v[24:25], off
.LBB33_22:                              ;   in Loop: Header=BB33_6 Depth=1
	s_or_b64 exec, exec, s[22:23]
.LBB33_23:                              ;   in Loop: Header=BB33_6 Depth=1
	s_or_b64 exec, exec, s[20:21]
	s_and_b64 vcc, exec, s[34:35]
	s_cbranch_vccnz .LBB33_13
.LBB33_24:                              ;   in Loop: Header=BB33_6 Depth=1
                                        ; implicit-def: $vgpr27
.LBB33_25:                              ;   in Loop: Header=BB33_6 Depth=1
	s_waitcnt vmcnt(0)
	v_mov_b32_e32 v26, 0
	v_mov_b32_e32 v27, 0
	s_and_saveexec_b64 s[20:21], s[0:1]
	s_cbranch_execz .LBB33_4
; %bb.26:                               ;   in Loop: Header=BB33_6 Depth=1
	v_mov_b32_e32 v27, s19
	v_add_co_u32_e32 v26, vcc, s18, v28
	v_addc_co_u32_e32 v27, vcc, 0, v27, vcc
	v_cmp_gt_i64_e32 vcc, s[40:41], v[26:27]
	v_mov_b32_e32 v27, 0
	v_mov_b32_e32 v26, 0
	s_and_saveexec_b64 s[22:23], vcc
	s_cbranch_execz .LBB33_3
; %bb.27:                               ;   in Loop: Header=BB33_6 Depth=1
	global_load_dwordx2 v[26:27], v[20:21], off
	s_branch .LBB33_3
.LBB33_28:
	ds_read_b32 v15, v30
.LBB33_29:
	s_load_dwordx8 s[0:7], s[6:7], 0x88
	s_waitcnt lgkmcnt(0)
	s_mul_i32 s7, s10, s7
	s_mul_hi_u32 s8, s10, s6
	s_mul_i32 s6, s10, s6
	s_add_i32 s7, s8, s7
	s_lshl_b64 s[6:7], s[6:7], 3
	s_add_u32 s6, s26, s6
	s_addc_u32 s7, s27, s7
	s_lshl_b64 s[0:1], s[0:1], 3
	s_add_u32 s6, s6, s0
	v_mul_lo_u32 v14, v7, s4
	s_addc_u32 s7, s7, s1
	v_mul_lo_u32 v16, v6, s5
	v_mad_u64_u32 v[6:7], s[0:1], v6, s4, 0
	v_add3_u32 v7, v7, v16, v14
	v_mul_lo_u32 v14, v5, s2
	v_mul_lo_u32 v16, v4, s3
	v_mad_u64_u32 v[4:5], s[0:1], v4, s2, 0
	v_lshlrev_b64 v[6:7], 3, v[6:7]
	v_add3_u32 v5, v5, v16, v14
	v_mov_b32_e32 v14, s7
	v_add_co_u32_e32 v6, vcc, s6, v6
	v_addc_co_u32_e32 v7, vcc, v14, v7, vcc
	v_lshlrev_b64 v[4:5], 3, v[4:5]
	v_add_co_u32_e32 v16, vcc, v6, v4
	v_lshl_or_b32 v6, v19, 4, v10
	v_addc_co_u32_e32 v17, vcc, v7, v5, vcc
	v_mbcnt_hi_u32_b32 v7, -1, v29
	v_and_b32_e32 v6, 63, v6
	v_and_or_b32 v6, v7, 64, v6
	v_lshlrev_b32_e32 v14, 2, v6
	v_mad_u64_u32 v[6:7], s[0:1], v10, s4, 0
	v_cmp_lt_u64_e32 vcc, v[10:11], v[8:9]
	v_mov_b32_e32 v8, v7
	v_mad_u64_u32 v[8:9], s[0:1], v10, s5, v[8:9]
	v_mov_b32_e32 v7, v8
	v_lshlrev_b64 v[8:9], 3, v[6:7]
	ds_bpermute_b32 v6, v14, v15
	ds_bpermute_b32 v7, v14, v26
	v_add_co_u32_e64 v10, s[0:1], v16, v8
	v_lshlrev_b32_e32 v4, 2, v28
	v_mov_b32_e32 v5, 0
	v_addc_co_u32_e64 v11, s[0:1], v17, v9, s[0:1]
	v_cmp_lt_u64_e64 s[0:1], v[4:5], v[2:3]
	s_and_b64 s[0:1], vcc, s[0:1]
	s_and_saveexec_b64 s[4:5], s[0:1]
	s_cbranch_execz .LBB33_31
; %bb.30:
	v_mad_u64_u32 v[8:9], s[0:1], v4, s2, 0
	v_mov_b32_e32 v16, v9
	v_mad_u64_u32 v[16:17], s[0:1], v4, s3, v[16:17]
	v_mov_b32_e32 v9, v16
	v_lshlrev_b64 v[8:9], 3, v[8:9]
	v_add_co_u32_e64 v8, s[0:1], v10, v8
	v_addc_co_u32_e64 v9, s[0:1], v11, v9, s[0:1]
	global_load_dwordx2 v[16:17], v[8:9], off
	s_waitcnt lgkmcnt(0)
	v_pk_mul_f32 v[18:19], s[30:31], v[6:7]
	v_mul_f32_e32 v7, s30, v7
	v_fmac_f32_e32 v7, s31, v6
	v_sub_f32_e32 v15, v18, v19
	s_waitcnt vmcnt(0)
	v_mul_f32_e32 v6, s29, v17
	v_mul_f32_e32 v17, s28, v17
	v_fma_f32 v6, s28, v16, -v6
	v_fmac_f32_e32 v17, s29, v16
	v_add_f32_e32 v6, v15, v6
	v_add_f32_e32 v7, v7, v17
	global_store_dwordx2 v[8:9], v[6:7], off
.LBB33_31:
	s_or_b64 exec, exec, s[4:5]
	s_waitcnt lgkmcnt(1)
	ds_bpermute_b32 v6, v14, v25
	s_waitcnt lgkmcnt(1)
	ds_bpermute_b32 v7, v14, v27
	v_or_b32_e32 v8, 1, v4
	v_mov_b32_e32 v9, v5
	v_cmp_lt_u64_e64 s[0:1], v[8:9], v[2:3]
	s_and_b64 s[0:1], vcc, s[0:1]
	s_and_saveexec_b64 s[4:5], s[0:1]
	s_cbranch_execz .LBB33_33
; %bb.32:
	v_mad_u64_u32 v[16:17], s[0:1], v8, s2, 0
	v_mov_b32_e32 v18, v17
	v_mad_u64_u32 v[8:9], s[0:1], v8, s3, v[18:19]
	v_mov_b32_e32 v17, v8
	v_lshlrev_b64 v[8:9], 3, v[16:17]
	v_add_co_u32_e64 v8, s[0:1], v10, v8
	v_addc_co_u32_e64 v9, s[0:1], v11, v9, s[0:1]
	global_load_dwordx2 v[16:17], v[8:9], off
	s_waitcnt lgkmcnt(1)
	v_mul_f32_e32 v15, s31, v6
	s_waitcnt lgkmcnt(0)
	v_pk_mul_f32 v[18:19], s[30:31], v[6:7]
	v_fmac_f32_e32 v15, s30, v7
	v_sub_f32_e32 v6, v18, v19
	s_waitcnt vmcnt(0)
	v_mul_f32_e32 v7, s29, v17
	v_mul_f32_e32 v17, s28, v17
	v_fma_f32 v7, s28, v16, -v7
	v_fmac_f32_e32 v17, s29, v16
	v_add_f32_e32 v6, v6, v7
	v_add_f32_e32 v7, v15, v17
	global_store_dwordx2 v[8:9], v[6:7], off
.LBB33_33:
	s_or_b64 exec, exec, s[4:5]
	s_waitcnt lgkmcnt(1)
	ds_bpermute_b32 v6, v14, v12
	s_waitcnt lgkmcnt(1)
	ds_bpermute_b32 v7, v14, v0
	v_or_b32_e32 v8, 2, v4
	v_mov_b32_e32 v9, v5
	v_cmp_lt_u64_e64 s[0:1], v[8:9], v[2:3]
	s_and_b64 s[0:1], vcc, s[0:1]
	s_and_saveexec_b64 s[4:5], s[0:1]
	s_cbranch_execz .LBB33_35
; %bb.34:
	v_mad_u64_u32 v[16:17], s[0:1], v8, s2, 0
	v_mov_b32_e32 v0, v17
	v_mad_u64_u32 v[8:9], s[0:1], v8, s3, v[0:1]
	v_mov_b32_e32 v17, v8
	v_lshlrev_b64 v[8:9], 3, v[16:17]
	v_add_co_u32_e64 v8, s[0:1], v10, v8
	v_addc_co_u32_e64 v9, s[0:1], v11, v9, s[0:1]
	global_load_dwordx2 v[16:17], v[8:9], off
	s_waitcnt lgkmcnt(1)
	v_mul_f32_e32 v0, s31, v6
	s_waitcnt lgkmcnt(0)
	v_pk_mul_f32 v[18:19], s[30:31], v[6:7]
	v_fmac_f32_e32 v0, s30, v7
	v_sub_f32_e32 v6, v18, v19
	s_waitcnt vmcnt(0)
	v_mul_f32_e32 v7, s29, v17
	v_mul_f32_e32 v12, s28, v17
	v_fma_f32 v7, s28, v16, -v7
	v_fmac_f32_e32 v12, s29, v16
	v_add_f32_e32 v6, v6, v7
	v_add_f32_e32 v7, v0, v12
	global_store_dwordx2 v[8:9], v[6:7], off
.LBB33_35:
	s_or_b64 exec, exec, s[4:5]
	ds_bpermute_b32 v0, v14, v13
	ds_bpermute_b32 v1, v14, v1
	v_or_b32_e32 v4, 3, v4
	v_cmp_lt_u64_e64 s[0:1], v[4:5], v[2:3]
	s_and_b64 s[0:1], vcc, s[0:1]
	s_and_b64 exec, exec, s[0:1]
	s_cbranch_execz .LBB33_37
; %bb.36:
	v_mad_u64_u32 v[2:3], s[0:1], v4, s2, 0
	s_waitcnt lgkmcnt(3)
	v_mov_b32_e32 v6, v3
	s_waitcnt lgkmcnt(2)
	v_mad_u64_u32 v[4:5], s[0:1], v4, s3, v[6:7]
	v_mov_b32_e32 v3, v4
	v_lshlrev_b64 v[2:3], 3, v[2:3]
	v_add_co_u32_e32 v2, vcc, v10, v2
	v_addc_co_u32_e32 v3, vcc, v11, v3, vcc
	global_load_dwordx2 v[4:5], v[2:3], off
	s_waitcnt lgkmcnt(0)
	v_pk_mul_f32 v[6:7], s[30:31], v[0:1]
	v_mov_b32_e32 v6, v1
	s_mov_b32 s0, s31
	v_mov_b32_e32 v8, v7
	v_pk_mul_f32 v[6:7], s[30:31], v[6:7] op_sel_hi:[1,0]
	v_pk_fma_f32 v[8:9], s[30:31], v[0:1], v[8:9] neg_lo:[0,0,1] neg_hi:[0,0,1]
	v_pk_fma_f32 v[0:1], s[0:1], v[0:1], v[6:7]
	s_mov_b32 s2, s29
	s_waitcnt vmcnt(0)
	v_pk_mul_f32 v[6:7], s[28:29], v[4:5]
	v_mov_b32_e32 v6, v5
	v_mov_b32_e32 v10, v7
	v_pk_mul_f32 v[6:7], s[28:29], v[6:7]
	v_pk_fma_f32 v[10:11], s[28:29], v[4:5], v[10:11] neg_lo:[0,0,1] neg_hi:[0,0,1]
	v_pk_fma_f32 v[4:5], s[2:3], v[4:5], v[6:7]
	v_pk_add_f32 v[6:7], v[8:9], v[10:11]
	v_pk_add_f32 v[0:1], v[0:1], v[4:5]
	v_mov_b32_e32 v7, v0
	global_store_dwordx2 v[2:3], v[6:7], off
.LBB33_37:
	s_endpgm
	.section	.rodata,"a",@progbits
	.p2align	6, 0x0
	.amdhsa_kernel _ZN9rocsolver6v33100L16mfma_gemm_kernelI19rocblas_complex_numIfElPKS3_PS3_S6_S6_EEv18rocblas_operation_S7_T0_S8_S8_T1_T2_lS8_S8_lT3_lS8_S8_lS9_T4_lS8_S8_l
		.amdhsa_group_segment_fixed_size 20480
		.amdhsa_private_segment_fixed_size 0
		.amdhsa_kernarg_size 424
		.amdhsa_user_sgpr_count 8
		.amdhsa_user_sgpr_private_segment_buffer 1
		.amdhsa_user_sgpr_dispatch_ptr 1
		.amdhsa_user_sgpr_queue_ptr 0
		.amdhsa_user_sgpr_kernarg_segment_ptr 1
		.amdhsa_user_sgpr_dispatch_id 0
		.amdhsa_user_sgpr_flat_scratch_init 0
		.amdhsa_user_sgpr_kernarg_preload_length 0
		.amdhsa_user_sgpr_kernarg_preload_offset 0
		.amdhsa_user_sgpr_private_segment_size 0
		.amdhsa_uses_dynamic_stack 0
		.amdhsa_system_sgpr_private_segment_wavefront_offset 0
		.amdhsa_system_sgpr_workgroup_id_x 1
		.amdhsa_system_sgpr_workgroup_id_y 1
		.amdhsa_system_sgpr_workgroup_id_z 1
		.amdhsa_system_sgpr_workgroup_info 0
		.amdhsa_system_vgpr_workitem_id 2
		.amdhsa_next_free_vgpr 51
		.amdhsa_next_free_sgpr 54
		.amdhsa_accum_offset 52
		.amdhsa_reserve_vcc 1
		.amdhsa_reserve_flat_scratch 0
		.amdhsa_float_round_mode_32 0
		.amdhsa_float_round_mode_16_64 0
		.amdhsa_float_denorm_mode_32 3
		.amdhsa_float_denorm_mode_16_64 3
		.amdhsa_dx10_clamp 1
		.amdhsa_ieee_mode 1
		.amdhsa_fp16_overflow 0
		.amdhsa_tg_split 0
		.amdhsa_exception_fp_ieee_invalid_op 0
		.amdhsa_exception_fp_denorm_src 0
		.amdhsa_exception_fp_ieee_div_zero 0
		.amdhsa_exception_fp_ieee_overflow 0
		.amdhsa_exception_fp_ieee_underflow 0
		.amdhsa_exception_fp_ieee_inexact 0
		.amdhsa_exception_int_div_zero 0
	.end_amdhsa_kernel
	.section	.text._ZN9rocsolver6v33100L16mfma_gemm_kernelI19rocblas_complex_numIfElPKS3_PS3_S6_S6_EEv18rocblas_operation_S7_T0_S8_S8_T1_T2_lS8_S8_lT3_lS8_S8_lS9_T4_lS8_S8_l,"axG",@progbits,_ZN9rocsolver6v33100L16mfma_gemm_kernelI19rocblas_complex_numIfElPKS3_PS3_S6_S6_EEv18rocblas_operation_S7_T0_S8_S8_T1_T2_lS8_S8_lT3_lS8_S8_lS9_T4_lS8_S8_l,comdat
.Lfunc_end33:
	.size	_ZN9rocsolver6v33100L16mfma_gemm_kernelI19rocblas_complex_numIfElPKS3_PS3_S6_S6_EEv18rocblas_operation_S7_T0_S8_S8_T1_T2_lS8_S8_lT3_lS8_S8_lS9_T4_lS8_S8_l, .Lfunc_end33-_ZN9rocsolver6v33100L16mfma_gemm_kernelI19rocblas_complex_numIfElPKS3_PS3_S6_S6_EEv18rocblas_operation_S7_T0_S8_S8_T1_T2_lS8_S8_lT3_lS8_S8_lS9_T4_lS8_S8_l
                                        ; -- End function
	.section	.AMDGPU.csdata,"",@progbits
; Kernel info:
; codeLenInByte = 2712
; NumSgprs: 58
; NumVgprs: 51
; NumAgprs: 0
; TotalNumVgprs: 51
; ScratchSize: 0
; MemoryBound: 0
; FloatMode: 240
; IeeeMode: 1
; LDSByteSize: 20480 bytes/workgroup (compile time only)
; SGPRBlocks: 7
; VGPRBlocks: 6
; NumSGPRsForWavesPerEU: 58
; NumVGPRsForWavesPerEU: 51
; AccumOffset: 52
; Occupancy: 8
; WaveLimiterHint : 0
; COMPUTE_PGM_RSRC2:SCRATCH_EN: 0
; COMPUTE_PGM_RSRC2:USER_SGPR: 8
; COMPUTE_PGM_RSRC2:TRAP_HANDLER: 0
; COMPUTE_PGM_RSRC2:TGID_X_EN: 1
; COMPUTE_PGM_RSRC2:TGID_Y_EN: 1
; COMPUTE_PGM_RSRC2:TGID_Z_EN: 1
; COMPUTE_PGM_RSRC2:TIDIG_COMP_CNT: 2
; COMPUTE_PGM_RSRC3_GFX90A:ACCUM_OFFSET: 12
; COMPUTE_PGM_RSRC3_GFX90A:TG_SPLIT: 0
	.section	.text._ZN9rocsolver6v33100L16mfma_gemm_kernelI19rocblas_complex_numIfElS3_PS3_S4_S4_EEv18rocblas_operation_S5_T0_S6_S6_T1_T2_lS6_S6_lT3_lS6_S6_lS7_T4_lS6_S6_l,"axG",@progbits,_ZN9rocsolver6v33100L16mfma_gemm_kernelI19rocblas_complex_numIfElS3_PS3_S4_S4_EEv18rocblas_operation_S5_T0_S6_S6_T1_T2_lS6_S6_lT3_lS6_S6_lS7_T4_lS6_S6_l,comdat
	.globl	_ZN9rocsolver6v33100L16mfma_gemm_kernelI19rocblas_complex_numIfElS3_PS3_S4_S4_EEv18rocblas_operation_S5_T0_S6_S6_T1_T2_lS6_S6_lT3_lS6_S6_lS7_T4_lS6_S6_l ; -- Begin function _ZN9rocsolver6v33100L16mfma_gemm_kernelI19rocblas_complex_numIfElS3_PS3_S4_S4_EEv18rocblas_operation_S5_T0_S6_S6_T1_T2_lS6_S6_lT3_lS6_S6_lS7_T4_lS6_S6_l
	.p2align	8
	.type	_ZN9rocsolver6v33100L16mfma_gemm_kernelI19rocblas_complex_numIfElS3_PS3_S4_S4_EEv18rocblas_operation_S5_T0_S6_S6_T1_T2_lS6_S6_lT3_lS6_S6_lS7_T4_lS6_S6_l,@function
_ZN9rocsolver6v33100L16mfma_gemm_kernelI19rocblas_complex_numIfElS3_PS3_S4_S4_EEv18rocblas_operation_S5_T0_S6_S6_T1_T2_lS6_S6_lT3_lS6_S6_lS7_T4_lS6_S6_l: ; @_ZN9rocsolver6v33100L16mfma_gemm_kernelI19rocblas_complex_numIfElS3_PS3_S4_S4_EEv18rocblas_operation_S5_T0_S6_S6_T1_T2_lS6_S6_lT3_lS6_S6_lS7_T4_lS6_S6_l
; %bb.0:
	s_load_dword s0, s[6:7], 0xb4
	s_load_dwordx4 s[12:15], s[6:7], 0x8
	v_and_b32_e32 v1, 0x3ff, v0
	v_lshrrev_b32_e32 v2, 6, v1
	v_mov_b32_e32 v3, 0
	s_waitcnt lgkmcnt(0)
	s_lshr_b32 s2, s0, 16
	s_bfe_u32 s0, s0, 0xa0006
	v_mov_b32_e32 v4, s8
	v_bfe_u32 v8, v0, 10, 10
	v_mov_b32_e32 v9, v3
	v_mad_u64_u32 v[16:17], s[0:1], s0, v4, v[2:3]
	v_mov_b32_e32 v2, s9
	v_mad_u64_u32 v[20:21], s[0:1], s2, v2, v[8:9]
	v_lshlrev_b64 v[4:5], 4, v[16:17]
	v_lshlrev_b64 v[6:7], 4, v[20:21]
	v_cmp_gt_i64_e32 vcc, s[12:13], v[4:5]
	v_cmp_gt_i64_e64 s[0:1], s[14:15], v[6:7]
	s_and_b64 s[0:1], vcc, s[0:1]
	s_and_saveexec_b64 s[2:3], s[0:1]
	s_cbranch_execz .LBB34_37
; %bb.1:
	s_load_dwordx2 s[0:1], s[4:5], 0x4
	v_bfe_u32 v0, v0, 20, 10
	s_load_dwordx4 s[28:31], s[6:7], 0x18
	s_load_dwordx2 s[34:35], s[6:7], 0x78
	v_bfe_u32 v10, v1, 2, 4
	v_mov_b32_e32 v11, v3
	s_waitcnt lgkmcnt(0)
	s_lshr_b32 s0, s0, 16
	s_mul_i32 s0, s0, s1
	v_mul_u32_u24_e32 v2, s1, v8
	v_mul_lo_u32 v8, s0, v1
	v_add3_u32 v0, v8, v2, v0
	v_add_co_u32_e32 v8, vcc, 16, v4
	v_addc_co_u32_e32 v9, vcc, 0, v5, vcc
	s_and_b32 s0, s12, 15
	v_mul_lo_u32 v30, v0, 20
	v_mov_b32_e32 v0, s0
	v_cmp_lt_u64_e32 vcc, s[12:13], v[8:9]
	v_cndmask_b32_e32 v2, 16, v0, vcc
	v_add_co_u32_e32 v8, vcc, 16, v6
	v_addc_co_u32_e32 v9, vcc, 0, v7, vcc
	s_and_b32 s0, s14, 15
	v_mov_b32_e32 v0, s0
	v_cmp_lt_u64_e32 vcc, s[14:15], v[8:9]
	v_cndmask_b32_e32 v8, 16, v0, vcc
	v_mov_b32_e32 v9, v3
	v_cmp_lt_i64_e64 s[0:1], s[28:29], 1
	v_and_b32_e32 v19, 63, v1
	v_and_b32_e32 v28, 3, v1
	s_and_b64 vcc, exec, s[0:1]
	v_cmp_lt_u64_e64 s[0:1], v[10:11], v[8:9]
	v_mbcnt_lo_u32_b32 v29, -1, 0
	v_mov_b32_e32 v13, v3
	v_mov_b32_e32 v0, v3
	;; [unrolled: 1-line block ×8, first 2 shown]
	ds_write2_b32 v30, v3, v3 offset0:2 offset1:3
	ds_write2_b32 v30, v3, v3 offset1:1
	ds_write_b32 v30, v3 offset:16
	s_cbranch_vccnz .LBB34_29
; %bb.2:
	s_load_dwordx2 s[46:47], s[6:7], 0x0
	s_load_dwordx16 s[12:27], s[6:7], 0x28
	s_load_dwordx4 s[36:39], s[6:7], 0x68
	v_lshrrev_b32_e32 v14, 4, v19
	v_and_b32_e32 v0, 15, v19
	s_waitcnt lgkmcnt(0)
	s_cmpk_lg_i32 s46, 0x6f
	s_cselect_b64 s[40:41], -1, 0
	s_cmpk_lg_i32 s47, 0x6f
	s_cselect_b64 s[42:43], -1, 0
	s_cmpk_eq_i32 s47, 0x6f
	s_cselect_b32 s11, s36, s26
	s_cselect_b32 s33, s37, s27
	s_cmpk_eq_i32 s46, 0x6f
	s_cselect_b32 s48, s16, s18
	s_cselect_b32 s49, s17, s19
	v_mul_lo_u32 v15, s49, v16
	v_mul_lo_u32 v17, s48, v17
	v_mad_u64_u32 v[12:13], s[48:49], s48, v16, 0
	v_add3_u32 v13, v13, v17, v15
	v_mad_u64_u32 v[16:17], s[48:49], s18, v14, 0
	v_mov_b32_e32 v18, v17
	v_mad_u64_u32 v[22:23], s[48:49], s19, v14, v[18:19]
	s_cmpk_eq_i32 s46, 0x71
	v_mov_b32_e32 v17, v22
	s_cselect_b64 s[44:45], -1, 0
	s_cmpk_eq_i32 s47, 0x71
	v_lshlrev_b64 v[12:13], 7, v[12:13]
	v_lshlrev_b64 v[16:17], 3, v[16:17]
	s_mul_i32 s21, s21, s10
	s_mul_hi_u32 s48, s20, s10
	s_cselect_b64 s[46:47], -1, 0
	v_add_co_u32_e32 v15, vcc, v12, v16
	s_add_i32 s21, s48, s21
	s_mul_i32 s20, s20, s10
	v_addc_co_u32_e32 v16, vcc, v13, v17, vcc
	s_lshl_b64 s[48:49], s[20:21], 3
	v_mov_b32_e32 v27, s49
	v_add_co_u32_e32 v15, vcc, s48, v15
	v_addc_co_u32_e32 v24, vcc, v16, v27, vcc
	v_mad_u64_u32 v[16:17], s[20:21], s16, v0, 0
	v_mov_b32_e32 v18, v17
	v_mad_u64_u32 v[22:23], s[20:21], s17, v0, v[18:19]
	v_mov_b32_e32 v17, v22
	v_lshlrev_b64 v[16:17], 3, v[16:17]
	v_add_co_u32_e32 v15, vcc, v15, v16
	v_addc_co_u32_e32 v17, vcc, v24, v17, vcc
	v_mov_b32_e32 v18, s13
	v_add_co_u32_e32 v16, vcc, s12, v15
	v_mad_u64_u32 v[22:23], s[50:51], s18, v10, 0
	v_addc_co_u32_e32 v15, vcc, v18, v17, vcc
	v_mov_b32_e32 v18, v23
	s_lshl_b64 s[20:21], s[18:19], 5
	v_mad_u64_u32 v[24:25], s[18:19], s19, v10, v[18:19]
	v_mov_b32_e32 v23, v24
	v_lshlrev_b64 v[22:23], 3, v[22:23]
	v_add_co_u32_e32 v12, vcc, v12, v22
	v_addc_co_u32_e32 v13, vcc, v13, v23, vcc
	v_add_co_u32_e32 v17, vcc, s48, v12
	v_addc_co_u32_e32 v24, vcc, v13, v27, vcc
	v_mad_u64_u32 v[12:13], s[18:19], s16, v28, 0
	v_mov_b32_e32 v18, v13
	v_mad_u64_u32 v[22:23], s[18:19], s17, v28, v[18:19]
	v_mov_b32_e32 v13, v22
	v_lshlrev_b64 v[12:13], 3, v[12:13]
	v_add_co_u32_e32 v12, vcc, v17, v12
	v_addc_co_u32_e32 v13, vcc, v24, v13, vcc
	v_mov_b32_e32 v17, s13
	v_add_co_u32_e32 v18, vcc, s12, v12
	v_addc_co_u32_e32 v17, vcc, v17, v13, vcc
	s_lshl_b64 s[12:13], s[16:17], 5
	v_mul_lo_u32 v22, s33, v20
	v_mul_lo_u32 v21, s11, v21
	v_mad_u64_u32 v[12:13], s[16:17], s11, v20, 0
	v_add3_u32 v13, v13, v21, v22
	v_mad_u64_u32 v[20:21], s[16:17], s36, v10, 0
	v_mov_b32_e32 v22, v21
	v_mad_u64_u32 v[22:23], s[16:17], s37, v10, v[22:23]
	v_mov_b32_e32 v21, v22
	v_lshlrev_b64 v[12:13], 7, v[12:13]
	v_lshlrev_b64 v[20:21], 3, v[20:21]
	s_mul_i32 s11, s39, s10
	s_mul_hi_u32 s16, s38, s10
	v_add_co_u32_e32 v20, vcc, v12, v20
	s_add_i32 s17, s16, s11
	s_mul_i32 s16, s38, s10
	v_addc_co_u32_e32 v21, vcc, v13, v21, vcc
	s_lshl_b64 s[18:19], s[16:17], 3
	v_mov_b32_e32 v27, s19
	v_add_co_u32_e32 v24, vcc, s18, v20
	v_addc_co_u32_e32 v25, vcc, v21, v27, vcc
	v_mad_u64_u32 v[20:21], s[16:17], s26, v28, 0
	v_mov_b32_e32 v22, v21
	v_mad_u64_u32 v[22:23], s[16:17], s27, v28, v[22:23]
	v_mov_b32_e32 v21, v22
	s_lshl_b64 s[14:15], s[14:15], 3
	v_lshlrev_b64 v[20:21], 3, v[20:21]
	s_lshl_b64 s[16:17], s[24:25], 3
	v_add_co_u32_e32 v20, vcc, v24, v20
	s_add_u32 s11, s22, s16
	v_addc_co_u32_e32 v21, vcc, v25, v21, vcc
	s_addc_u32 s24, s23, s17
	v_mov_b32_e32 v22, s24
	v_add_co_u32_e32 v20, vcc, s11, v20
	v_addc_co_u32_e32 v21, vcc, v22, v21, vcc
	v_mad_u64_u32 v[22:23], s[22:23], s36, v14, 0
	v_mov_b32_e32 v24, v23
	v_mad_u64_u32 v[24:25], s[22:23], s37, v14, v[24:25]
	v_mov_b32_e32 v23, v24
	v_lshlrev_b64 v[22:23], 3, v[22:23]
	v_add_co_u32_e32 v12, vcc, v12, v22
	v_addc_co_u32_e32 v13, vcc, v13, v23, vcc
	v_add_co_u32_e32 v24, vcc, s18, v12
	v_addc_co_u32_e32 v25, vcc, v13, v27, vcc
	v_mad_u64_u32 v[12:13], s[18:19], s26, v0, 0
	v_mov_b32_e32 v22, v13
	v_mad_u64_u32 v[22:23], s[18:19], s27, v0, v[22:23]
	v_mov_b32_e32 v13, v22
	v_mov_b32_e32 v1, 0
	v_lshlrev_b64 v[12:13], 3, v[12:13]
	v_lshl_or_b32 v26, v0, 2, v14
	v_cmp_lt_u64_e64 s[4:5], v[0:1], v[2:3]
	v_cmp_lt_u64_e64 s[8:9], v[0:1], v[8:9]
	v_add_co_u32_e32 v0, vcc, v24, v12
	v_addc_co_u32_e32 v12, vcc, v25, v13, vcc
	v_add_co_u32_e32 v22, vcc, s11, v0
	v_mbcnt_hi_u32_b32 v0, -1, v29
	v_mov_b32_e32 v13, s24
	v_and_or_b32 v0, v0, 64, v26
	v_cmp_lt_u64_e64 s[2:3], v[10:11], v[2:3]
	s_lshl_b64 s[16:17], s[26:27], 5
	v_addc_co_u32_e32 v23, vcc, v13, v12, vcc
	s_lshl_b64 s[18:19], s[36:37], 5
	s_mov_b64 s[22:23], 0
	v_lshlrev_b32_e32 v31, 2, v0
	v_mov_b32_e32 v12, v1
	v_mov_b32_e32 v0, v1
	;; [unrolled: 1-line block ×3, first 2 shown]
	s_branch .LBB34_6
.LBB34_3:                               ;   in Loop: Header=BB34_6 Depth=1
	s_or_b64 exec, exec, s[26:27]
.LBB34_4:                               ;   in Loop: Header=BB34_6 Depth=1
	s_or_b64 exec, exec, s[24:25]
	s_waitcnt vmcnt(0)
	ds_bpermute_b32 v26, v31, v26
	ds_bpermute_b32 v27, v31, v27
.LBB34_5:                               ;   in Loop: Header=BB34_6 Depth=1
	s_waitcnt vmcnt(0) lgkmcnt(0)
	v_cndmask_b32_e64 v50, v25, -v25, s[44:45]
	v_cndmask_b32_e64 v27, v27, -v27, s[46:47]
	v_mfma_f32_16x16x4f32 v[32:35], v24, v26, 0
	v_add_co_u32_e32 v16, vcc, s20, v16
	s_add_u32 s22, s22, 4
	s_addc_u32 s23, s23, 0
	v_mfma_f32_16x16x4f32 v[40:43], v50, v27, 0
	v_mfma_f32_16x16x4f32 v[36:39], v24, v27, 0
	ds_read2_b32 v[24:25], v30 offset1:1
	ds_read2_b32 v[44:45], v30 offset0:3 offset1:4
	ds_read2_b32 v[46:47], v30 offset0:2 offset1:3
	;; [unrolled: 1-line block ×3, first 2 shown]
	s_nop 5
	v_sub_f32_e32 v35, v35, v43
	v_sub_f32_e32 v34, v34, v42
	v_sub_f32_e32 v33, v33, v41
	v_sub_f32_e32 v32, v32, v40
	s_waitcnt lgkmcnt(1)
	v_mov_b32_e32 v25, v46
	v_pk_add_f32 v[24:25], v[24:25], v[32:33]
	v_pk_add_f32 v[12:13], v[12:13], v[34:35]
	v_mfma_f32_16x16x4f32 v[32:35], v50, v26, 0
	s_waitcnt lgkmcnt(0)
	v_mov_b32_e32 v49, v44
	s_nop 7
	s_nop 0
	v_pk_add_f32 v[26:27], v[38:39], v[34:35]
	v_pk_add_f32 v[32:33], v[36:37], v[32:33]
	;; [unrolled: 1-line block ×4, first 2 shown]
	ds_write2_b32 v30, v24, v26 offset1:1
	ds_write2_b32 v30, v25, v27 offset0:2 offset1:3
	ds_write_b32 v30, v12 offset:16
	v_mov_b32_e32 v24, s21
	v_addc_co_u32_e32 v15, vcc, v15, v24, vcc
	v_mov_b32_e32 v24, s13
	v_add_co_u32_e32 v18, vcc, s12, v18
	v_addc_co_u32_e32 v17, vcc, v17, v24, vcc
	v_mov_b32_e32 v24, s17
	v_add_co_u32_e32 v20, vcc, s16, v20
	;; [unrolled: 3-line block ×3, first 2 shown]
	v_addc_co_u32_e32 v23, vcc, v23, v24, vcc
	v_pk_mov_b32 v[32:33], s[28:29], s[28:29] op_sel:[0,1]
	v_cmp_ge_i64_e32 vcc, s[22:23], v[32:33]
	s_cbranch_vccnz .LBB34_28
.LBB34_6:                               ; =>This Inner Loop Header: Depth=1
	s_and_b64 vcc, exec, s[40:41]
	s_cbranch_vccz .LBB34_18
; %bb.7:                                ;   in Loop: Header=BB34_6 Depth=1
	v_mov_b32_e32 v24, 0
	v_mov_b32_e32 v25, 0
	s_and_saveexec_b64 s[24:25], s[2:3]
	s_cbranch_execz .LBB34_11
; %bb.8:                                ;   in Loop: Header=BB34_6 Depth=1
	v_mov_b32_e32 v25, s23
	v_add_co_u32_e32 v24, vcc, s22, v28
	v_addc_co_u32_e32 v25, vcc, 0, v25, vcc
	v_cmp_gt_i64_e32 vcc, s[28:29], v[24:25]
	v_mov_b32_e32 v25, 0
	v_mov_b32_e32 v24, 0
	s_and_saveexec_b64 s[26:27], vcc
	s_cbranch_execz .LBB34_10
; %bb.9:                                ;   in Loop: Header=BB34_6 Depth=1
	v_mov_b32_e32 v25, s15
	v_add_co_u32_e32 v24, vcc, s14, v18
	v_addc_co_u32_e32 v25, vcc, v17, v25, vcc
	global_load_dwordx2 v[24:25], v[24:25], off
.LBB34_10:                              ;   in Loop: Header=BB34_6 Depth=1
	s_or_b64 exec, exec, s[26:27]
.LBB34_11:                              ;   in Loop: Header=BB34_6 Depth=1
	s_or_b64 exec, exec, s[24:25]
	s_waitcnt vmcnt(0)
	ds_bpermute_b32 v24, v31, v24
	ds_bpermute_b32 v25, v31, v25
.LBB34_12:                              ;   in Loop: Header=BB34_6 Depth=1
	s_and_b64 vcc, exec, s[42:43]
	s_cbranch_vccz .LBB34_24
.LBB34_13:                              ;   in Loop: Header=BB34_6 Depth=1
	v_mov_b32_e32 v27, 0
	v_mov_b32_e32 v26, 0
	s_and_saveexec_b64 s[24:25], s[8:9]
	s_cbranch_execz .LBB34_17
; %bb.14:                               ;   in Loop: Header=BB34_6 Depth=1
	v_mov_b32_e32 v27, s23
	v_add_co_u32_e32 v26, vcc, s22, v14
	v_addc_co_u32_e32 v27, vcc, 0, v27, vcc
	v_cmp_gt_i64_e32 vcc, s[28:29], v[26:27]
	v_mov_b32_e32 v27, 0
	v_mov_b32_e32 v26, 0
	s_and_saveexec_b64 s[26:27], vcc
	s_cbranch_execz .LBB34_16
; %bb.15:                               ;   in Loop: Header=BB34_6 Depth=1
	global_load_dwordx2 v[26:27], v[22:23], off
.LBB34_16:                              ;   in Loop: Header=BB34_6 Depth=1
	s_or_b64 exec, exec, s[26:27]
.LBB34_17:                              ;   in Loop: Header=BB34_6 Depth=1
	s_or_b64 exec, exec, s[24:25]
	s_cbranch_execnz .LBB34_5
	s_branch .LBB34_25
.LBB34_18:                              ;   in Loop: Header=BB34_6 Depth=1
                                        ; implicit-def: $vgpr25
	s_cbranch_execz .LBB34_12
; %bb.19:                               ;   in Loop: Header=BB34_6 Depth=1
	s_waitcnt lgkmcnt(0)
	v_mov_b32_e32 v25, 0
	v_mov_b32_e32 v24, 0
	s_and_saveexec_b64 s[24:25], s[4:5]
	s_cbranch_execz .LBB34_23
; %bb.20:                               ;   in Loop: Header=BB34_6 Depth=1
	v_mov_b32_e32 v25, s23
	v_add_co_u32_e32 v24, vcc, s22, v14
	v_addc_co_u32_e32 v25, vcc, 0, v25, vcc
	v_cmp_gt_i64_e32 vcc, s[28:29], v[24:25]
	v_mov_b32_e32 v25, 0
	v_mov_b32_e32 v24, 0
	s_and_saveexec_b64 s[26:27], vcc
	s_cbranch_execz .LBB34_22
; %bb.21:                               ;   in Loop: Header=BB34_6 Depth=1
	v_mov_b32_e32 v25, s15
	v_add_co_u32_e32 v24, vcc, s14, v16
	v_addc_co_u32_e32 v25, vcc, v15, v25, vcc
	global_load_dwordx2 v[24:25], v[24:25], off
.LBB34_22:                              ;   in Loop: Header=BB34_6 Depth=1
	s_or_b64 exec, exec, s[26:27]
.LBB34_23:                              ;   in Loop: Header=BB34_6 Depth=1
	s_or_b64 exec, exec, s[24:25]
	s_and_b64 vcc, exec, s[42:43]
	s_cbranch_vccnz .LBB34_13
.LBB34_24:                              ;   in Loop: Header=BB34_6 Depth=1
                                        ; implicit-def: $vgpr27
.LBB34_25:                              ;   in Loop: Header=BB34_6 Depth=1
	s_waitcnt vmcnt(0)
	v_mov_b32_e32 v26, 0
	v_mov_b32_e32 v27, 0
	s_and_saveexec_b64 s[24:25], s[0:1]
	s_cbranch_execz .LBB34_4
; %bb.26:                               ;   in Loop: Header=BB34_6 Depth=1
	v_mov_b32_e32 v27, s23
	v_add_co_u32_e32 v26, vcc, s22, v28
	v_addc_co_u32_e32 v27, vcc, 0, v27, vcc
	v_cmp_gt_i64_e32 vcc, s[28:29], v[26:27]
	v_mov_b32_e32 v27, 0
	v_mov_b32_e32 v26, 0
	s_and_saveexec_b64 s[26:27], vcc
	s_cbranch_execz .LBB34_3
; %bb.27:                               ;   in Loop: Header=BB34_6 Depth=1
	global_load_dwordx2 v[26:27], v[20:21], off
	s_branch .LBB34_3
.LBB34_28:
	ds_read_b32 v15, v30
.LBB34_29:
	s_load_dwordx2 s[0:1], s[6:7], 0xa0
	s_load_dwordx8 s[12:19], s[6:7], 0x80
	s_waitcnt lgkmcnt(0)
	s_mul_i32 s1, s10, s1
	s_mul_hi_u32 s2, s10, s0
	s_mul_i32 s0, s10, s0
	s_add_i32 s1, s2, s1
	s_lshl_b64 s[0:1], s[0:1], 3
	s_add_u32 s2, s12, s0
	s_addc_u32 s3, s13, s1
	s_lshl_b64 s[0:1], s[14:15], 3
	s_add_u32 s2, s2, s0
	s_addc_u32 s3, s3, s1
	v_mul_lo_u32 v14, v7, s18
	v_mul_lo_u32 v16, v6, s19
	v_mad_u64_u32 v[6:7], s[0:1], v6, s18, 0
	v_add3_u32 v7, v7, v16, v14
	v_mul_lo_u32 v14, v5, s16
	v_mul_lo_u32 v16, v4, s17
	v_mad_u64_u32 v[4:5], s[0:1], v4, s16, 0
	v_lshlrev_b64 v[6:7], 3, v[6:7]
	v_add3_u32 v5, v5, v16, v14
	v_mov_b32_e32 v14, s3
	v_add_co_u32_e32 v6, vcc, s2, v6
	v_addc_co_u32_e32 v7, vcc, v14, v7, vcc
	v_lshlrev_b64 v[4:5], 3, v[4:5]
	v_add_co_u32_e32 v16, vcc, v6, v4
	v_lshl_or_b32 v6, v19, 4, v10
	v_addc_co_u32_e32 v17, vcc, v7, v5, vcc
	v_mbcnt_hi_u32_b32 v7, -1, v29
	v_and_b32_e32 v6, 63, v6
	v_and_or_b32 v6, v7, 64, v6
	v_lshlrev_b32_e32 v14, 2, v6
	v_mad_u64_u32 v[6:7], s[0:1], v10, s18, 0
	v_cmp_lt_u64_e32 vcc, v[10:11], v[8:9]
	v_mov_b32_e32 v8, v7
	v_mad_u64_u32 v[8:9], s[0:1], v10, s19, v[8:9]
	v_mov_b32_e32 v7, v8
	v_lshlrev_b64 v[8:9], 3, v[6:7]
	ds_bpermute_b32 v6, v14, v15
	ds_bpermute_b32 v7, v14, v26
	v_add_co_u32_e64 v10, s[0:1], v16, v8
	v_lshlrev_b32_e32 v4, 2, v28
	v_mov_b32_e32 v5, 0
	v_addc_co_u32_e64 v11, s[0:1], v17, v9, s[0:1]
	v_cmp_lt_u64_e64 s[0:1], v[4:5], v[2:3]
	s_and_b64 s[0:1], vcc, s[0:1]
	s_and_saveexec_b64 s[2:3], s[0:1]
	s_cbranch_execz .LBB34_31
; %bb.30:
	v_mad_u64_u32 v[8:9], s[0:1], v4, s16, 0
	v_mov_b32_e32 v16, v9
	v_mad_u64_u32 v[16:17], s[0:1], v4, s17, v[16:17]
	v_mov_b32_e32 v9, v16
	v_lshlrev_b64 v[8:9], 3, v[8:9]
	v_add_co_u32_e64 v8, s[0:1], v10, v8
	v_addc_co_u32_e64 v9, s[0:1], v11, v9, s[0:1]
	global_load_dwordx2 v[16:17], v[8:9], off
	s_waitcnt lgkmcnt(0)
	v_pk_mul_f32 v[18:19], s[30:31], v[6:7]
	v_mul_f32_e32 v7, s30, v7
	v_fmac_f32_e32 v7, s31, v6
	v_sub_f32_e32 v15, v18, v19
	s_waitcnt vmcnt(0)
	v_mul_f32_e32 v6, s35, v17
	v_mul_f32_e32 v17, s34, v17
	v_fma_f32 v6, s34, v16, -v6
	v_fmac_f32_e32 v17, s35, v16
	v_add_f32_e32 v6, v15, v6
	v_add_f32_e32 v7, v7, v17
	global_store_dwordx2 v[8:9], v[6:7], off
.LBB34_31:
	s_or_b64 exec, exec, s[2:3]
	s_waitcnt lgkmcnt(1)
	ds_bpermute_b32 v6, v14, v25
	s_waitcnt lgkmcnt(1)
	ds_bpermute_b32 v7, v14, v27
	v_or_b32_e32 v8, 1, v4
	v_mov_b32_e32 v9, v5
	v_cmp_lt_u64_e64 s[0:1], v[8:9], v[2:3]
	s_and_b64 s[0:1], vcc, s[0:1]
	s_and_saveexec_b64 s[2:3], s[0:1]
	s_cbranch_execz .LBB34_33
; %bb.32:
	v_mad_u64_u32 v[16:17], s[0:1], v8, s16, 0
	v_mov_b32_e32 v18, v17
	v_mad_u64_u32 v[8:9], s[0:1], v8, s17, v[18:19]
	v_mov_b32_e32 v17, v8
	v_lshlrev_b64 v[8:9], 3, v[16:17]
	v_add_co_u32_e64 v8, s[0:1], v10, v8
	v_addc_co_u32_e64 v9, s[0:1], v11, v9, s[0:1]
	global_load_dwordx2 v[16:17], v[8:9], off
	s_waitcnt lgkmcnt(1)
	v_mul_f32_e32 v15, s31, v6
	s_waitcnt lgkmcnt(0)
	v_pk_mul_f32 v[18:19], s[30:31], v[6:7]
	v_fmac_f32_e32 v15, s30, v7
	v_sub_f32_e32 v6, v18, v19
	s_waitcnt vmcnt(0)
	v_mul_f32_e32 v7, s35, v17
	v_mul_f32_e32 v17, s34, v17
	v_fma_f32 v7, s34, v16, -v7
	v_fmac_f32_e32 v17, s35, v16
	v_add_f32_e32 v6, v6, v7
	v_add_f32_e32 v7, v15, v17
	global_store_dwordx2 v[8:9], v[6:7], off
.LBB34_33:
	s_or_b64 exec, exec, s[2:3]
	s_waitcnt lgkmcnt(1)
	ds_bpermute_b32 v6, v14, v12
	s_waitcnt lgkmcnt(1)
	ds_bpermute_b32 v7, v14, v0
	v_or_b32_e32 v8, 2, v4
	v_mov_b32_e32 v9, v5
	v_cmp_lt_u64_e64 s[0:1], v[8:9], v[2:3]
	s_and_b64 s[0:1], vcc, s[0:1]
	s_and_saveexec_b64 s[2:3], s[0:1]
	s_cbranch_execz .LBB34_35
; %bb.34:
	v_mad_u64_u32 v[16:17], s[0:1], v8, s16, 0
	v_mov_b32_e32 v0, v17
	v_mad_u64_u32 v[8:9], s[0:1], v8, s17, v[0:1]
	v_mov_b32_e32 v17, v8
	v_lshlrev_b64 v[8:9], 3, v[16:17]
	v_add_co_u32_e64 v8, s[0:1], v10, v8
	v_addc_co_u32_e64 v9, s[0:1], v11, v9, s[0:1]
	global_load_dwordx2 v[16:17], v[8:9], off
	s_waitcnt lgkmcnt(1)
	v_mul_f32_e32 v0, s31, v6
	s_waitcnt lgkmcnt(0)
	v_pk_mul_f32 v[18:19], s[30:31], v[6:7]
	v_fmac_f32_e32 v0, s30, v7
	v_sub_f32_e32 v6, v18, v19
	s_waitcnt vmcnt(0)
	v_mul_f32_e32 v7, s35, v17
	v_mul_f32_e32 v12, s34, v17
	v_fma_f32 v7, s34, v16, -v7
	v_fmac_f32_e32 v12, s35, v16
	v_add_f32_e32 v6, v6, v7
	v_add_f32_e32 v7, v0, v12
	global_store_dwordx2 v[8:9], v[6:7], off
.LBB34_35:
	s_or_b64 exec, exec, s[2:3]
	ds_bpermute_b32 v0, v14, v13
	ds_bpermute_b32 v1, v14, v1
	v_or_b32_e32 v4, 3, v4
	v_cmp_lt_u64_e64 s[0:1], v[4:5], v[2:3]
	s_and_b64 s[0:1], vcc, s[0:1]
	s_and_b64 exec, exec, s[0:1]
	s_cbranch_execz .LBB34_37
; %bb.36:
	v_mad_u64_u32 v[2:3], s[0:1], v4, s16, 0
	s_waitcnt lgkmcnt(3)
	v_mov_b32_e32 v6, v3
	s_waitcnt lgkmcnt(2)
	v_mad_u64_u32 v[4:5], s[0:1], v4, s17, v[6:7]
	v_mov_b32_e32 v3, v4
	v_lshlrev_b64 v[2:3], 3, v[2:3]
	v_add_co_u32_e32 v2, vcc, v10, v2
	v_addc_co_u32_e32 v3, vcc, v11, v3, vcc
	global_load_dwordx2 v[4:5], v[2:3], off
	s_waitcnt lgkmcnt(0)
	v_pk_mul_f32 v[6:7], s[30:31], v[0:1]
	v_mov_b32_e32 v6, v1
	s_mov_b32 s0, s31
	v_mov_b32_e32 v8, v7
	v_pk_mul_f32 v[6:7], s[30:31], v[6:7] op_sel_hi:[1,0]
	v_pk_fma_f32 v[8:9], s[30:31], v[0:1], v[8:9] neg_lo:[0,0,1] neg_hi:[0,0,1]
	v_pk_fma_f32 v[0:1], s[0:1], v[0:1], v[6:7]
	s_mov_b32 s2, s35
	s_waitcnt vmcnt(0)
	v_pk_mul_f32 v[6:7], s[34:35], v[4:5]
	v_mov_b32_e32 v6, v5
	v_mov_b32_e32 v10, v7
	v_pk_mul_f32 v[6:7], s[34:35], v[6:7]
	v_pk_fma_f32 v[10:11], s[34:35], v[4:5], v[10:11] neg_lo:[0,0,1] neg_hi:[0,0,1]
	v_pk_fma_f32 v[4:5], s[2:3], v[4:5], v[6:7]
	v_pk_add_f32 v[6:7], v[8:9], v[10:11]
	v_pk_add_f32 v[0:1], v[0:1], v[4:5]
	v_mov_b32_e32 v7, v0
	global_store_dwordx2 v[2:3], v[6:7], off
.LBB34_37:
	s_endpgm
	.section	.rodata,"a",@progbits
	.p2align	6, 0x0
	.amdhsa_kernel _ZN9rocsolver6v33100L16mfma_gemm_kernelI19rocblas_complex_numIfElS3_PS3_S4_S4_EEv18rocblas_operation_S5_T0_S6_S6_T1_T2_lS6_S6_lT3_lS6_S6_lS7_T4_lS6_S6_l
		.amdhsa_group_segment_fixed_size 20480
		.amdhsa_private_segment_fixed_size 0
		.amdhsa_kernarg_size 424
		.amdhsa_user_sgpr_count 8
		.amdhsa_user_sgpr_private_segment_buffer 1
		.amdhsa_user_sgpr_dispatch_ptr 1
		.amdhsa_user_sgpr_queue_ptr 0
		.amdhsa_user_sgpr_kernarg_segment_ptr 1
		.amdhsa_user_sgpr_dispatch_id 0
		.amdhsa_user_sgpr_flat_scratch_init 0
		.amdhsa_user_sgpr_kernarg_preload_length 0
		.amdhsa_user_sgpr_kernarg_preload_offset 0
		.amdhsa_user_sgpr_private_segment_size 0
		.amdhsa_uses_dynamic_stack 0
		.amdhsa_system_sgpr_private_segment_wavefront_offset 0
		.amdhsa_system_sgpr_workgroup_id_x 1
		.amdhsa_system_sgpr_workgroup_id_y 1
		.amdhsa_system_sgpr_workgroup_id_z 1
		.amdhsa_system_sgpr_workgroup_info 0
		.amdhsa_system_vgpr_workitem_id 2
		.amdhsa_next_free_vgpr 51
		.amdhsa_next_free_sgpr 52
		.amdhsa_accum_offset 52
		.amdhsa_reserve_vcc 1
		.amdhsa_reserve_flat_scratch 0
		.amdhsa_float_round_mode_32 0
		.amdhsa_float_round_mode_16_64 0
		.amdhsa_float_denorm_mode_32 3
		.amdhsa_float_denorm_mode_16_64 3
		.amdhsa_dx10_clamp 1
		.amdhsa_ieee_mode 1
		.amdhsa_fp16_overflow 0
		.amdhsa_tg_split 0
		.amdhsa_exception_fp_ieee_invalid_op 0
		.amdhsa_exception_fp_denorm_src 0
		.amdhsa_exception_fp_ieee_div_zero 0
		.amdhsa_exception_fp_ieee_overflow 0
		.amdhsa_exception_fp_ieee_underflow 0
		.amdhsa_exception_fp_ieee_inexact 0
		.amdhsa_exception_int_div_zero 0
	.end_amdhsa_kernel
	.section	.text._ZN9rocsolver6v33100L16mfma_gemm_kernelI19rocblas_complex_numIfElS3_PS3_S4_S4_EEv18rocblas_operation_S5_T0_S6_S6_T1_T2_lS6_S6_lT3_lS6_S6_lS7_T4_lS6_S6_l,"axG",@progbits,_ZN9rocsolver6v33100L16mfma_gemm_kernelI19rocblas_complex_numIfElS3_PS3_S4_S4_EEv18rocblas_operation_S5_T0_S6_S6_T1_T2_lS6_S6_lT3_lS6_S6_lS7_T4_lS6_S6_l,comdat
.Lfunc_end34:
	.size	_ZN9rocsolver6v33100L16mfma_gemm_kernelI19rocblas_complex_numIfElS3_PS3_S4_S4_EEv18rocblas_operation_S5_T0_S6_S6_T1_T2_lS6_S6_lT3_lS6_S6_lS7_T4_lS6_S6_l, .Lfunc_end34-_ZN9rocsolver6v33100L16mfma_gemm_kernelI19rocblas_complex_numIfElS3_PS3_S4_S4_EEv18rocblas_operation_S5_T0_S6_S6_T1_T2_lS6_S6_lT3_lS6_S6_lS7_T4_lS6_S6_l
                                        ; -- End function
	.section	.AMDGPU.csdata,"",@progbits
; Kernel info:
; codeLenInByte = 2728
; NumSgprs: 56
; NumVgprs: 51
; NumAgprs: 0
; TotalNumVgprs: 51
; ScratchSize: 0
; MemoryBound: 0
; FloatMode: 240
; IeeeMode: 1
; LDSByteSize: 20480 bytes/workgroup (compile time only)
; SGPRBlocks: 6
; VGPRBlocks: 6
; NumSGPRsForWavesPerEU: 56
; NumVGPRsForWavesPerEU: 51
; AccumOffset: 52
; Occupancy: 8
; WaveLimiterHint : 1
; COMPUTE_PGM_RSRC2:SCRATCH_EN: 0
; COMPUTE_PGM_RSRC2:USER_SGPR: 8
; COMPUTE_PGM_RSRC2:TRAP_HANDLER: 0
; COMPUTE_PGM_RSRC2:TGID_X_EN: 1
; COMPUTE_PGM_RSRC2:TGID_Y_EN: 1
; COMPUTE_PGM_RSRC2:TGID_Z_EN: 1
; COMPUTE_PGM_RSRC2:TIDIG_COMP_CNT: 2
; COMPUTE_PGM_RSRC3_GFX90A:ACCUM_OFFSET: 12
; COMPUTE_PGM_RSRC3_GFX90A:TG_SPLIT: 0
	.section	.text._ZN9rocsolver6v33100L11gemm_kernelI19rocblas_complex_numIfElPKS3_PS3_S6_S6_EEvT0_S7_S7_T1_bT2_lS7_S7_lbT3_lS7_S7_lS8_T4_lS7_S7_l,"axG",@progbits,_ZN9rocsolver6v33100L11gemm_kernelI19rocblas_complex_numIfElPKS3_PS3_S6_S6_EEvT0_S7_S7_T1_bT2_lS7_S7_lbT3_lS7_S7_lS8_T4_lS7_S7_l,comdat
	.globl	_ZN9rocsolver6v33100L11gemm_kernelI19rocblas_complex_numIfElPKS3_PS3_S6_S6_EEvT0_S7_S7_T1_bT2_lS7_S7_lbT3_lS7_S7_lS8_T4_lS7_S7_l ; -- Begin function _ZN9rocsolver6v33100L11gemm_kernelI19rocblas_complex_numIfElPKS3_PS3_S6_S6_EEvT0_S7_S7_T1_bT2_lS7_S7_lbT3_lS7_S7_lS8_T4_lS7_S7_l
	.p2align	8
	.type	_ZN9rocsolver6v33100L11gemm_kernelI19rocblas_complex_numIfElPKS3_PS3_S6_S6_EEvT0_S7_S7_T1_bT2_lS7_S7_lbT3_lS7_S7_lS8_T4_lS7_S7_l,@function
_ZN9rocsolver6v33100L11gemm_kernelI19rocblas_complex_numIfElPKS3_PS3_S6_S6_EEvT0_S7_S7_T1_bT2_lS7_S7_lbT3_lS7_S7_lS8_T4_lS7_S7_l: ; @_ZN9rocsolver6v33100L11gemm_kernelI19rocblas_complex_numIfElPKS3_PS3_S6_S6_EEvT0_S7_S7_T1_bT2_lS7_S7_lbT3_lS7_S7_lS8_T4_lS7_S7_l
; %bb.0:
	s_load_dword s0, s[4:5], 0xbc
	s_load_dwordx8 s[24:31], s[4:5], 0x0
	v_and_b32_e32 v4, 0x3ff, v0
	v_mov_b32_e32 v5, 0
	v_mov_b32_e32 v1, s6
	s_waitcnt lgkmcnt(0)
	s_lshr_b32 s2, s0, 16
	s_and_b32 s0, s0, 0xffff
	v_mad_u64_u32 v[2:3], s[0:1], s0, v1, v[4:5]
	v_bfe_u32 v4, v0, 10, 10
	v_mov_b32_e32 v0, s7
	v_mad_u64_u32 v[0:1], s[0:1], s2, v0, v[4:5]
	v_cmp_gt_i64_e32 vcc, s[24:25], v[2:3]
	v_cmp_gt_i64_e64 s[0:1], s[26:27], v[0:1]
	s_and_b64 s[0:1], vcc, s[0:1]
	s_and_saveexec_b64 s[2:3], s[0:1]
	s_cbranch_execz .LBB35_9
; %bb.1:
	s_load_dwordx16 s[12:27], s[4:5], 0x58
	s_load_dwordx2 s[2:3], s[30:31], 0x0
	v_cmp_lt_i64_e64 s[6:7], s[28:29], 1
	s_and_b64 vcc, exec, s[6:7]
	v_mov_b32_e32 v4, 0
	s_waitcnt lgkmcnt(0)
	s_load_dwordx2 s[0:1], s[22:23], 0x0
	s_cbranch_vccnz .LBB35_8
; %bb.2:
	s_load_dword s6, s[4:5], 0x20
	s_load_dwordx8 s[36:43], s[4:5], 0x28
	s_load_dwordx2 s[22:23], s[4:5], 0x48
	s_load_dword s9, s[4:5], 0x50
	v_mul_lo_u32 v8, s19, v0
	s_waitcnt lgkmcnt(0)
	s_bitcmp1_b32 s6, 0
	s_cselect_b64 s[6:7], -1, 0
	s_xor_b64 s[6:7], s[6:7], -1
	s_bitcmp1_b32 s9, 0
	s_mul_i32 s9, s23, s8
	s_mul_hi_u32 s23, s22, s8
	s_cselect_b64 s[10:11], -1, 0
	v_mad_u64_u32 v[4:5], s[30:31], s40, v2, 0
	s_add_i32 s23, s23, s9
	s_mul_i32 s22, s22, s8
	s_lshl_b64 s[22:23], s[22:23], 3
	s_lshl_b64 s[30:31], s[38:39], 3
	s_add_u32 s9, s36, s30
	v_mul_lo_u32 v6, s41, v2
	v_mul_lo_u32 v7, s40, v3
	s_addc_u32 s30, s37, s31
	v_add3_u32 v5, v5, v7, v6
	s_add_u32 s9, s9, s22
	v_lshlrev_b64 v[4:5], 3, v[4:5]
	s_addc_u32 s22, s30, s23
	v_mov_b32_e32 v6, s22
	v_add_co_u32_e32 v4, vcc, s9, v4
	v_addc_co_u32_e32 v5, vcc, v6, v5, vcc
	v_add_co_u32_e32 v6, vcc, 4, v4
	v_addc_co_u32_e32 v7, vcc, 0, v5, vcc
	v_mul_lo_u32 v9, s18, v1
	v_mad_u64_u32 v[4:5], s[18:19], s18, v0, 0
	s_mul_i32 s9, s21, s8
	s_mul_hi_u32 s18, s20, s8
	s_add_i32 s19, s18, s9
	s_mul_i32 s18, s20, s8
	s_lshl_b64 s[22:23], s[42:43], 3
	s_lshl_b64 s[18:19], s[18:19], 3
	s_lshl_b64 s[14:15], s[14:15], 3
	s_add_u32 s9, s12, s14
	s_addc_u32 s12, s13, s15
	v_add3_u32 v5, v5, v9, v8
	s_add_u32 s9, s9, s18
	v_lshlrev_b64 v[4:5], 3, v[4:5]
	s_addc_u32 s12, s12, s19
	v_mov_b32_e32 v8, s12
	v_add_co_u32_e32 v4, vcc, s9, v4
	v_addc_co_u32_e32 v5, vcc, v8, v5, vcc
	v_add_co_u32_e32 v8, vcc, 4, v4
	s_lshl_b64 s[12:13], s[16:17], 3
	v_addc_co_u32_e32 v9, vcc, 0, v5, vcc
	v_mov_b32_e32 v5, 0
	v_mov_b32_e32 v12, s23
	;; [unrolled: 1-line block ×4, first 2 shown]
	s_branch .LBB35_4
.LBB35_3:                               ;   in Loop: Header=BB35_4 Depth=1
	global_load_dwordx2 v[14:15], v[8:9], off offset:-4
	v_add_co_u32_e32 v6, vcc, s22, v6
	s_add_u32 s28, s28, -1
	v_addc_co_u32_e32 v7, vcc, v7, v12, vcc
	s_addc_u32 s29, s29, -1
	v_add_co_u32_e32 v8, vcc, s12, v8
	s_cmp_eq_u64 s[28:29], 0
	v_addc_co_u32_e32 v9, vcc, v9, v13, vcc
	s_waitcnt vmcnt(0)
	v_cndmask_b32_e64 v15, v15, -v15, s[10:11]
	v_mul_f32_e32 v16, v14, v11
	v_mul_f32_e32 v11, v15, v11
	v_fmac_f32_e32 v16, v15, v10
	v_fma_f32 v10, v14, v10, -v11
	v_add_f32_e32 v5, v5, v16
	v_add_f32_e32 v4, v4, v10
	s_cbranch_scc1 .LBB35_8
.LBB35_4:                               ; =>This Inner Loop Header: Depth=1
	s_and_b64 vcc, exec, s[6:7]
	s_cbranch_vccz .LBB35_6
; %bb.5:                                ;   in Loop: Header=BB35_4 Depth=1
	global_load_dwordx2 v[10:11], v[6:7], off offset:-4
	s_cbranch_execnz .LBB35_3
	s_branch .LBB35_7
.LBB35_6:                               ;   in Loop: Header=BB35_4 Depth=1
                                        ; implicit-def: $vgpr11
.LBB35_7:                               ;   in Loop: Header=BB35_4 Depth=1
	global_load_dwordx2 v[10:11], v[6:7], off offset:-4
	s_waitcnt vmcnt(0)
	v_xor_b32_e32 v11, 0x80000000, v11
	s_branch .LBB35_3
.LBB35_8:
	s_load_dwordx2 s[6:7], s[4:5], 0xa8
	s_load_dwordx4 s[12:15], s[4:5], 0x98
	s_waitcnt lgkmcnt(0)
	s_mul_i32 s5, s8, s7
	s_mul_hi_u32 s7, s8, s6
	s_mul_i32 s4, s8, s6
	s_add_i32 s5, s7, s5
	s_lshl_b64 s[4:5], s[4:5], 3
	s_add_u32 s6, s24, s4
	s_addc_u32 s7, s25, s5
	s_lshl_b64 s[4:5], s[26:27], 3
	s_add_u32 s6, s6, s4
	s_addc_u32 s7, s7, s5
	v_mul_lo_u32 v6, v3, s12
	v_mul_lo_u32 v7, v2, s13
	v_mad_u64_u32 v[2:3], s[4:5], v2, s12, 0
	v_add3_u32 v3, v3, v7, v6
	v_mul_lo_u32 v6, v1, s14
	v_mul_lo_u32 v7, v0, s15
	v_mad_u64_u32 v[0:1], s[4:5], v0, s14, 0
	v_lshlrev_b64 v[2:3], 3, v[2:3]
	v_add3_u32 v1, v1, v7, v6
	v_mov_b32_e32 v6, s7
	v_add_co_u32_e32 v2, vcc, s6, v2
	v_addc_co_u32_e32 v3, vcc, v6, v3, vcc
	v_lshlrev_b64 v[0:1], 3, v[0:1]
	v_add_co_u32_e32 v0, vcc, v2, v0
	v_addc_co_u32_e32 v1, vcc, v3, v1, vcc
	global_load_dwordx2 v[2:3], v[0:1], off
	v_mul_f32_e32 v6, s3, v5
	v_mul_f32_e32 v5, s2, v5
	v_fma_f32 v6, s2, v4, -v6
	v_fmac_f32_e32 v5, s3, v4
	s_waitcnt vmcnt(0)
	v_mul_f32_e32 v4, s1, v3
	v_mul_f32_e32 v3, s0, v3
	v_fma_f32 v4, s0, v2, -v4
	v_fmac_f32_e32 v3, s1, v2
	v_add_f32_e32 v2, v6, v4
	v_add_f32_e32 v3, v5, v3
	global_store_dwordx2 v[0:1], v[2:3], off
.LBB35_9:
	s_endpgm
	.section	.rodata,"a",@progbits
	.p2align	6, 0x0
	.amdhsa_kernel _ZN9rocsolver6v33100L11gemm_kernelI19rocblas_complex_numIfElPKS3_PS3_S6_S6_EEvT0_S7_S7_T1_bT2_lS7_S7_lbT3_lS7_S7_lS8_T4_lS7_S7_l
		.amdhsa_group_segment_fixed_size 0
		.amdhsa_private_segment_fixed_size 0
		.amdhsa_kernarg_size 432
		.amdhsa_user_sgpr_count 6
		.amdhsa_user_sgpr_private_segment_buffer 1
		.amdhsa_user_sgpr_dispatch_ptr 0
		.amdhsa_user_sgpr_queue_ptr 0
		.amdhsa_user_sgpr_kernarg_segment_ptr 1
		.amdhsa_user_sgpr_dispatch_id 0
		.amdhsa_user_sgpr_flat_scratch_init 0
		.amdhsa_user_sgpr_kernarg_preload_length 0
		.amdhsa_user_sgpr_kernarg_preload_offset 0
		.amdhsa_user_sgpr_private_segment_size 0
		.amdhsa_uses_dynamic_stack 0
		.amdhsa_system_sgpr_private_segment_wavefront_offset 0
		.amdhsa_system_sgpr_workgroup_id_x 1
		.amdhsa_system_sgpr_workgroup_id_y 1
		.amdhsa_system_sgpr_workgroup_id_z 1
		.amdhsa_system_sgpr_workgroup_info 0
		.amdhsa_system_vgpr_workitem_id 1
		.amdhsa_next_free_vgpr 17
		.amdhsa_next_free_sgpr 44
		.amdhsa_accum_offset 20
		.amdhsa_reserve_vcc 1
		.amdhsa_reserve_flat_scratch 0
		.amdhsa_float_round_mode_32 0
		.amdhsa_float_round_mode_16_64 0
		.amdhsa_float_denorm_mode_32 3
		.amdhsa_float_denorm_mode_16_64 3
		.amdhsa_dx10_clamp 1
		.amdhsa_ieee_mode 1
		.amdhsa_fp16_overflow 0
		.amdhsa_tg_split 0
		.amdhsa_exception_fp_ieee_invalid_op 0
		.amdhsa_exception_fp_denorm_src 0
		.amdhsa_exception_fp_ieee_div_zero 0
		.amdhsa_exception_fp_ieee_overflow 0
		.amdhsa_exception_fp_ieee_underflow 0
		.amdhsa_exception_fp_ieee_inexact 0
		.amdhsa_exception_int_div_zero 0
	.end_amdhsa_kernel
	.section	.text._ZN9rocsolver6v33100L11gemm_kernelI19rocblas_complex_numIfElPKS3_PS3_S6_S6_EEvT0_S7_S7_T1_bT2_lS7_S7_lbT3_lS7_S7_lS8_T4_lS7_S7_l,"axG",@progbits,_ZN9rocsolver6v33100L11gemm_kernelI19rocblas_complex_numIfElPKS3_PS3_S6_S6_EEvT0_S7_S7_T1_bT2_lS7_S7_lbT3_lS7_S7_lS8_T4_lS7_S7_l,comdat
.Lfunc_end35:
	.size	_ZN9rocsolver6v33100L11gemm_kernelI19rocblas_complex_numIfElPKS3_PS3_S6_S6_EEvT0_S7_S7_T1_bT2_lS7_S7_lbT3_lS7_S7_lS8_T4_lS7_S7_l, .Lfunc_end35-_ZN9rocsolver6v33100L11gemm_kernelI19rocblas_complex_numIfElPKS3_PS3_S6_S6_EEvT0_S7_S7_T1_bT2_lS7_S7_lbT3_lS7_S7_lS8_T4_lS7_S7_l
                                        ; -- End function
	.section	.AMDGPU.csdata,"",@progbits
; Kernel info:
; codeLenInByte = 792
; NumSgprs: 48
; NumVgprs: 17
; NumAgprs: 0
; TotalNumVgprs: 17
; ScratchSize: 0
; MemoryBound: 0
; FloatMode: 240
; IeeeMode: 1
; LDSByteSize: 0 bytes/workgroup (compile time only)
; SGPRBlocks: 5
; VGPRBlocks: 2
; NumSGPRsForWavesPerEU: 48
; NumVGPRsForWavesPerEU: 17
; AccumOffset: 20
; Occupancy: 8
; WaveLimiterHint : 0
; COMPUTE_PGM_RSRC2:SCRATCH_EN: 0
; COMPUTE_PGM_RSRC2:USER_SGPR: 6
; COMPUTE_PGM_RSRC2:TRAP_HANDLER: 0
; COMPUTE_PGM_RSRC2:TGID_X_EN: 1
; COMPUTE_PGM_RSRC2:TGID_Y_EN: 1
; COMPUTE_PGM_RSRC2:TGID_Z_EN: 1
; COMPUTE_PGM_RSRC2:TIDIG_COMP_CNT: 1
; COMPUTE_PGM_RSRC3_GFX90A:ACCUM_OFFSET: 4
; COMPUTE_PGM_RSRC3_GFX90A:TG_SPLIT: 0
	.section	.text._ZN9rocsolver6v33100L11gemm_kernelI19rocblas_complex_numIfElS3_PS3_S4_S4_EEvT0_S5_S5_T1_bT2_lS5_S5_lbT3_lS5_S5_lS6_T4_lS5_S5_l,"axG",@progbits,_ZN9rocsolver6v33100L11gemm_kernelI19rocblas_complex_numIfElS3_PS3_S4_S4_EEvT0_S5_S5_T1_bT2_lS5_S5_lbT3_lS5_S5_lS6_T4_lS5_S5_l,comdat
	.globl	_ZN9rocsolver6v33100L11gemm_kernelI19rocblas_complex_numIfElS3_PS3_S4_S4_EEvT0_S5_S5_T1_bT2_lS5_S5_lbT3_lS5_S5_lS6_T4_lS5_S5_l ; -- Begin function _ZN9rocsolver6v33100L11gemm_kernelI19rocblas_complex_numIfElS3_PS3_S4_S4_EEvT0_S5_S5_T1_bT2_lS5_S5_lbT3_lS5_S5_lS6_T4_lS5_S5_l
	.p2align	8
	.type	_ZN9rocsolver6v33100L11gemm_kernelI19rocblas_complex_numIfElS3_PS3_S4_S4_EEvT0_S5_S5_T1_bT2_lS5_S5_lbT3_lS5_S5_lS6_T4_lS5_S5_l,@function
_ZN9rocsolver6v33100L11gemm_kernelI19rocblas_complex_numIfElS3_PS3_S4_S4_EEvT0_S5_S5_T1_bT2_lS5_S5_lbT3_lS5_S5_lS6_T4_lS5_S5_l: ; @_ZN9rocsolver6v33100L11gemm_kernelI19rocblas_complex_numIfElS3_PS3_S4_S4_EEvT0_S5_S5_T1_bT2_lS5_S5_lbT3_lS5_S5_lS6_T4_lS5_S5_l
; %bb.0:
	s_load_dword s9, s[4:5], 0xbc
	s_load_dwordx4 s[0:3], s[4:5], 0x0
	v_and_b32_e32 v4, 0x3ff, v0
	v_mov_b32_e32 v5, 0
	v_mov_b32_e32 v1, s6
	s_waitcnt lgkmcnt(0)
	s_lshr_b32 s12, s9, 16
	s_and_b32 s9, s9, 0xffff
	v_mad_u64_u32 v[2:3], s[10:11], s9, v1, v[4:5]
	v_bfe_u32 v4, v0, 10, 10
	v_mov_b32_e32 v0, s7
	v_mad_u64_u32 v[0:1], s[6:7], s12, v0, v[4:5]
	v_cmp_gt_i64_e32 vcc, s[0:1], v[2:3]
	v_cmp_gt_i64_e64 s[0:1], s[2:3], v[0:1]
	s_and_b64 s[0:1], vcc, s[0:1]
	s_and_saveexec_b64 s[2:3], s[0:1]
	s_cbranch_execz .LBB36_9
; %bb.1:
	s_load_dwordx2 s[10:11], s[4:5], 0x10
	s_load_dwordx4 s[0:3], s[4:5], 0x18
	s_load_dwordx2 s[6:7], s[4:5], 0x80
	v_mov_b32_e32 v4, 0
	s_waitcnt lgkmcnt(0)
	v_cmp_lt_i64_e64 s[12:13], s[10:11], 1
	s_and_b64 vcc, exec, s[12:13]
	s_cbranch_vccnz .LBB36_8
; %bb.2:
	s_load_dwordx2 s[30:31], s[4:5], 0x48
	s_load_dword s9, s[4:5], 0x50
	s_load_dwordx8 s[20:27], s[4:5], 0x28
	s_load_dwordx8 s[12:19], s[4:5], 0x58
	s_bitcmp1_b32 s2, 0
	s_cselect_b64 s[2:3], -1, 0
	s_xor_b64 s[2:3], s[2:3], -1
	s_waitcnt lgkmcnt(0)
	v_mul_lo_u32 v6, s25, v2
	v_mul_lo_u32 v7, s24, v3
	v_mad_u64_u32 v[4:5], s[24:25], s24, v2, 0
	s_bitcmp1_b32 s9, 0
	s_mul_i32 s9, s31, s8
	s_mul_hi_u32 s24, s30, s8
	s_cselect_b64 s[28:29], -1, 0
	s_add_i32 s25, s24, s9
	s_mul_i32 s24, s30, s8
	s_lshl_b64 s[24:25], s[24:25], 3
	s_lshl_b64 s[22:23], s[22:23], 3
	s_add_u32 s9, s20, s22
	s_addc_u32 s20, s21, s23
	v_add3_u32 v5, v5, v7, v6
	s_add_u32 s9, s9, s24
	s_load_dwordx2 s[34:35], s[4:5], 0x78
	v_lshlrev_b64 v[4:5], 3, v[4:5]
	s_addc_u32 s20, s20, s25
	v_mov_b32_e32 v6, s20
	v_add_co_u32_e32 v4, vcc, s9, v4
	v_addc_co_u32_e32 v5, vcc, v6, v5, vcc
	v_add_co_u32_e32 v6, vcc, 4, v4
	v_addc_co_u32_e32 v7, vcc, 0, v5, vcc
	v_mul_lo_u32 v8, s19, v0
	v_mul_lo_u32 v9, s18, v1
	v_mad_u64_u32 v[4:5], s[18:19], s18, v0, 0
	s_waitcnt lgkmcnt(0)
	s_mul_i32 s9, s35, s8
	s_mul_hi_u32 s18, s34, s8
	s_add_i32 s19, s18, s9
	s_mul_i32 s18, s34, s8
	s_lshl_b64 s[20:21], s[26:27], 3
	s_lshl_b64 s[18:19], s[18:19], 3
	;; [unrolled: 1-line block ×3, first 2 shown]
	s_add_u32 s9, s12, s14
	s_addc_u32 s12, s13, s15
	v_add3_u32 v5, v5, v9, v8
	s_add_u32 s9, s9, s18
	v_lshlrev_b64 v[4:5], 3, v[4:5]
	s_addc_u32 s12, s12, s19
	v_mov_b32_e32 v8, s12
	v_add_co_u32_e32 v4, vcc, s9, v4
	v_addc_co_u32_e32 v5, vcc, v8, v5, vcc
	v_add_co_u32_e32 v8, vcc, 4, v4
	s_lshl_b64 s[12:13], s[16:17], 3
	v_addc_co_u32_e32 v9, vcc, 0, v5, vcc
	v_mov_b32_e32 v5, 0
	v_mov_b32_e32 v12, s21
	;; [unrolled: 1-line block ×4, first 2 shown]
	s_branch .LBB36_4
.LBB36_3:                               ;   in Loop: Header=BB36_4 Depth=1
	global_load_dwordx2 v[14:15], v[8:9], off offset:-4
	v_add_co_u32_e32 v6, vcc, s20, v6
	s_add_u32 s10, s10, -1
	v_addc_co_u32_e32 v7, vcc, v7, v12, vcc
	s_addc_u32 s11, s11, -1
	v_add_co_u32_e32 v8, vcc, s12, v8
	s_cmp_eq_u64 s[10:11], 0
	v_addc_co_u32_e32 v9, vcc, v9, v13, vcc
	s_waitcnt vmcnt(0)
	v_cndmask_b32_e64 v15, v15, -v15, s[28:29]
	v_mul_f32_e32 v16, v14, v11
	v_mul_f32_e32 v11, v15, v11
	v_fmac_f32_e32 v16, v15, v10
	v_fma_f32 v10, v14, v10, -v11
	v_add_f32_e32 v5, v5, v16
	v_add_f32_e32 v4, v4, v10
	s_cbranch_scc1 .LBB36_8
.LBB36_4:                               ; =>This Inner Loop Header: Depth=1
	s_and_b64 vcc, exec, s[2:3]
	s_cbranch_vccz .LBB36_6
; %bb.5:                                ;   in Loop: Header=BB36_4 Depth=1
	global_load_dwordx2 v[10:11], v[6:7], off offset:-4
	s_cbranch_execnz .LBB36_3
	s_branch .LBB36_7
.LBB36_6:                               ;   in Loop: Header=BB36_4 Depth=1
                                        ; implicit-def: $vgpr11
.LBB36_7:                               ;   in Loop: Header=BB36_4 Depth=1
	global_load_dwordx2 v[10:11], v[6:7], off offset:-4
	s_waitcnt vmcnt(0)
	v_xor_b32_e32 v11, 0x80000000, v11
	s_branch .LBB36_3
.LBB36_8:
	s_load_dwordx2 s[2:3], s[4:5], 0xa8
	s_load_dwordx8 s[12:19], s[4:5], 0x88
	s_waitcnt lgkmcnt(0)
	s_mul_i32 s3, s8, s3
	s_mul_hi_u32 s4, s8, s2
	s_mul_i32 s2, s8, s2
	s_add_i32 s3, s4, s3
	s_lshl_b64 s[2:3], s[2:3], 3
	s_add_u32 s4, s12, s2
	s_addc_u32 s5, s13, s3
	s_lshl_b64 s[2:3], s[14:15], 3
	s_add_u32 s4, s4, s2
	s_addc_u32 s5, s5, s3
	v_mul_lo_u32 v6, v3, s16
	v_mul_lo_u32 v7, v2, s17
	v_mad_u64_u32 v[2:3], s[2:3], v2, s16, 0
	v_add3_u32 v3, v3, v7, v6
	v_mul_lo_u32 v6, v1, s18
	v_mul_lo_u32 v7, v0, s19
	v_mad_u64_u32 v[0:1], s[2:3], v0, s18, 0
	v_lshlrev_b64 v[2:3], 3, v[2:3]
	v_add3_u32 v1, v1, v7, v6
	v_mov_b32_e32 v6, s5
	v_add_co_u32_e32 v2, vcc, s4, v2
	v_addc_co_u32_e32 v3, vcc, v6, v3, vcc
	v_lshlrev_b64 v[0:1], 3, v[0:1]
	v_add_co_u32_e32 v0, vcc, v2, v0
	v_addc_co_u32_e32 v1, vcc, v3, v1, vcc
	global_load_dwordx2 v[2:3], v[0:1], off
	v_mul_f32_e32 v6, s1, v5
	v_mul_f32_e32 v5, s0, v5
	v_fma_f32 v6, s0, v4, -v6
	v_fmac_f32_e32 v5, s1, v4
	s_waitcnt vmcnt(0)
	v_mul_f32_e32 v4, s7, v3
	v_mul_f32_e32 v3, s6, v3
	v_fma_f32 v4, s6, v2, -v4
	v_fmac_f32_e32 v3, s7, v2
	v_add_f32_e32 v2, v6, v4
	v_add_f32_e32 v3, v5, v3
	global_store_dwordx2 v[0:1], v[2:3], off
.LBB36_9:
	s_endpgm
	.section	.rodata,"a",@progbits
	.p2align	6, 0x0
	.amdhsa_kernel _ZN9rocsolver6v33100L11gemm_kernelI19rocblas_complex_numIfElS3_PS3_S4_S4_EEvT0_S5_S5_T1_bT2_lS5_S5_lbT3_lS5_S5_lS6_T4_lS5_S5_l
		.amdhsa_group_segment_fixed_size 0
		.amdhsa_private_segment_fixed_size 0
		.amdhsa_kernarg_size 432
		.amdhsa_user_sgpr_count 6
		.amdhsa_user_sgpr_private_segment_buffer 1
		.amdhsa_user_sgpr_dispatch_ptr 0
		.amdhsa_user_sgpr_queue_ptr 0
		.amdhsa_user_sgpr_kernarg_segment_ptr 1
		.amdhsa_user_sgpr_dispatch_id 0
		.amdhsa_user_sgpr_flat_scratch_init 0
		.amdhsa_user_sgpr_kernarg_preload_length 0
		.amdhsa_user_sgpr_kernarg_preload_offset 0
		.amdhsa_user_sgpr_private_segment_size 0
		.amdhsa_uses_dynamic_stack 0
		.amdhsa_system_sgpr_private_segment_wavefront_offset 0
		.amdhsa_system_sgpr_workgroup_id_x 1
		.amdhsa_system_sgpr_workgroup_id_y 1
		.amdhsa_system_sgpr_workgroup_id_z 1
		.amdhsa_system_sgpr_workgroup_info 0
		.amdhsa_system_vgpr_workitem_id 1
		.amdhsa_next_free_vgpr 17
		.amdhsa_next_free_sgpr 36
		.amdhsa_accum_offset 20
		.amdhsa_reserve_vcc 1
		.amdhsa_reserve_flat_scratch 0
		.amdhsa_float_round_mode_32 0
		.amdhsa_float_round_mode_16_64 0
		.amdhsa_float_denorm_mode_32 3
		.amdhsa_float_denorm_mode_16_64 3
		.amdhsa_dx10_clamp 1
		.amdhsa_ieee_mode 1
		.amdhsa_fp16_overflow 0
		.amdhsa_tg_split 0
		.amdhsa_exception_fp_ieee_invalid_op 0
		.amdhsa_exception_fp_denorm_src 0
		.amdhsa_exception_fp_ieee_div_zero 0
		.amdhsa_exception_fp_ieee_overflow 0
		.amdhsa_exception_fp_ieee_underflow 0
		.amdhsa_exception_fp_ieee_inexact 0
		.amdhsa_exception_int_div_zero 0
	.end_amdhsa_kernel
	.section	.text._ZN9rocsolver6v33100L11gemm_kernelI19rocblas_complex_numIfElS3_PS3_S4_S4_EEvT0_S5_S5_T1_bT2_lS5_S5_lbT3_lS5_S5_lS6_T4_lS5_S5_l,"axG",@progbits,_ZN9rocsolver6v33100L11gemm_kernelI19rocblas_complex_numIfElS3_PS3_S4_S4_EEvT0_S5_S5_T1_bT2_lS5_S5_lbT3_lS5_S5_lS6_T4_lS5_S5_l,comdat
.Lfunc_end36:
	.size	_ZN9rocsolver6v33100L11gemm_kernelI19rocblas_complex_numIfElS3_PS3_S4_S4_EEvT0_S5_S5_T1_bT2_lS5_S5_lbT3_lS5_S5_lS6_T4_lS5_S5_l, .Lfunc_end36-_ZN9rocsolver6v33100L11gemm_kernelI19rocblas_complex_numIfElS3_PS3_S4_S4_EEvT0_S5_S5_T1_bT2_lS5_S5_lbT3_lS5_S5_lS6_T4_lS5_S5_l
                                        ; -- End function
	.section	.AMDGPU.csdata,"",@progbits
; Kernel info:
; codeLenInByte = 804
; NumSgprs: 40
; NumVgprs: 17
; NumAgprs: 0
; TotalNumVgprs: 17
; ScratchSize: 0
; MemoryBound: 0
; FloatMode: 240
; IeeeMode: 1
; LDSByteSize: 0 bytes/workgroup (compile time only)
; SGPRBlocks: 4
; VGPRBlocks: 2
; NumSGPRsForWavesPerEU: 40
; NumVGPRsForWavesPerEU: 17
; AccumOffset: 20
; Occupancy: 8
; WaveLimiterHint : 1
; COMPUTE_PGM_RSRC2:SCRATCH_EN: 0
; COMPUTE_PGM_RSRC2:USER_SGPR: 6
; COMPUTE_PGM_RSRC2:TRAP_HANDLER: 0
; COMPUTE_PGM_RSRC2:TGID_X_EN: 1
; COMPUTE_PGM_RSRC2:TGID_Y_EN: 1
; COMPUTE_PGM_RSRC2:TGID_Z_EN: 1
; COMPUTE_PGM_RSRC2:TIDIG_COMP_CNT: 1
; COMPUTE_PGM_RSRC3_GFX90A:ACCUM_OFFSET: 4
; COMPUTE_PGM_RSRC3_GFX90A:TG_SPLIT: 0
	.section	.text._ZN9rocsolver6v33100L16mfma_gemm_kernelI19rocblas_complex_numIfElPKS3_PKPS3_S8_S8_EEv18rocblas_operation_S9_T0_SA_SA_T1_T2_lSA_SA_lT3_lSA_SA_lSB_T4_lSA_SA_l,"axG",@progbits,_ZN9rocsolver6v33100L16mfma_gemm_kernelI19rocblas_complex_numIfElPKS3_PKPS3_S8_S8_EEv18rocblas_operation_S9_T0_SA_SA_T1_T2_lSA_SA_lT3_lSA_SA_lSB_T4_lSA_SA_l,comdat
	.globl	_ZN9rocsolver6v33100L16mfma_gemm_kernelI19rocblas_complex_numIfElPKS3_PKPS3_S8_S8_EEv18rocblas_operation_S9_T0_SA_SA_T1_T2_lSA_SA_lT3_lSA_SA_lSB_T4_lSA_SA_l ; -- Begin function _ZN9rocsolver6v33100L16mfma_gemm_kernelI19rocblas_complex_numIfElPKS3_PKPS3_S8_S8_EEv18rocblas_operation_S9_T0_SA_SA_T1_T2_lSA_SA_lT3_lSA_SA_lSB_T4_lSA_SA_l
	.p2align	8
	.type	_ZN9rocsolver6v33100L16mfma_gemm_kernelI19rocblas_complex_numIfElPKS3_PKPS3_S8_S8_EEv18rocblas_operation_S9_T0_SA_SA_T1_T2_lSA_SA_lT3_lSA_SA_lSB_T4_lSA_SA_l,@function
_ZN9rocsolver6v33100L16mfma_gemm_kernelI19rocblas_complex_numIfElPKS3_PKPS3_S8_S8_EEv18rocblas_operation_S9_T0_SA_SA_T1_T2_lSA_SA_lT3_lSA_SA_lSB_T4_lSA_SA_l: ; @_ZN9rocsolver6v33100L16mfma_gemm_kernelI19rocblas_complex_numIfElPKS3_PKPS3_S8_S8_EEv18rocblas_operation_S9_T0_SA_SA_T1_T2_lSA_SA_lT3_lSA_SA_lSB_T4_lSA_SA_l
; %bb.0:
	s_load_dword s0, s[6:7], 0xb4
	s_load_dwordx16 s[12:27], s[6:7], 0x8
	v_and_b32_e32 v1, 0x3ff, v0
	v_lshrrev_b32_e32 v2, 6, v1
	v_mov_b32_e32 v3, 0
	s_waitcnt lgkmcnt(0)
	s_lshr_b32 s2, s0, 16
	s_bfe_u32 s0, s0, 0xa0006
	v_mov_b32_e32 v4, s8
	v_bfe_u32 v8, v0, 10, 10
	v_mov_b32_e32 v9, v3
	v_mad_u64_u32 v[16:17], s[0:1], s0, v4, v[2:3]
	v_mov_b32_e32 v2, s9
	v_mad_u64_u32 v[20:21], s[0:1], s2, v2, v[8:9]
	v_lshlrev_b64 v[4:5], 4, v[16:17]
	v_lshlrev_b64 v[6:7], 4, v[20:21]
	v_cmp_gt_i64_e32 vcc, s[12:13], v[4:5]
	v_cmp_gt_i64_e64 s[0:1], s[14:15], v[6:7]
	s_mov_b32 s11, 0
	s_and_b64 s[0:1], vcc, s[0:1]
	s_and_saveexec_b64 s[2:3], s[0:1]
	s_cbranch_execz .LBB37_37
; %bb.1:
	s_load_dwordx2 s[0:1], s[4:5], 0x4
	s_load_dwordx8 s[36:43], s[6:7], 0x78
	s_load_dwordx2 s[34:35], s[6:7], 0x98
	v_bfe_u32 v0, v0, 20, 10
	s_lshl_b64 s[2:3], s[10:11], 3
	s_waitcnt lgkmcnt(0)
	s_lshr_b32 s0, s0, 16
	s_mul_i32 s0, s0, s1
	v_mul_u32_u24_e32 v2, s1, v8
	v_mul_lo_u32 v8, s0, v1
	v_add3_u32 v0, v8, v2, v0
	v_add_co_u32_e32 v8, vcc, 16, v4
	v_addc_co_u32_e32 v9, vcc, 0, v5, vcc
	s_and_b32 s0, s12, 15
	v_mul_lo_u32 v30, v0, 20
	v_mov_b32_e32 v0, s0
	v_cmp_lt_u64_e32 vcc, s[12:13], v[8:9]
	s_and_b32 s0, s14, 15
	v_cndmask_b32_e32 v2, 16, v0, vcc
	v_mov_b32_e32 v0, s0
	s_add_u32 s0, s38, s2
	s_addc_u32 s1, s39, s3
	v_add_co_u32_e32 v8, vcc, 16, v6
	s_load_dwordx2 s[30:31], s[18:19], 0x0
	s_load_dwordx2 s[28:29], s[36:37], 0x0
	v_addc_co_u32_e32 v9, vcc, 0, v7, vcc
	s_load_dwordx2 s[18:19], s[0:1], 0x0
	v_cmp_lt_u64_e32 vcc, s[14:15], v[8:9]
	v_cndmask_b32_e32 v8, 16, v0, vcc
	v_mov_b32_e32 v9, v3
	v_bfe_u32 v10, v1, 2, 4
	v_mov_b32_e32 v11, v3
	v_cmp_lt_i64_e64 s[0:1], s[16:17], 1
	v_and_b32_e32 v15, 63, v1
	v_and_b32_e32 v28, 3, v1
	s_and_b64 vcc, exec, s[0:1]
	v_cmp_lt_u64_e64 s[0:1], v[10:11], v[8:9]
	v_mbcnt_lo_u32_b32 v29, -1, 0
	v_mov_b32_e32 v13, v3
	v_mov_b32_e32 v0, v3
	;; [unrolled: 1-line block ×8, first 2 shown]
	ds_write2_b32 v30, v3, v3 offset0:2 offset1:3
	ds_write2_b32 v30, v3, v3 offset1:1
	ds_write_b32 v30, v3 offset:16
	s_cbranch_vccnz .LBB37_29
; %bb.2:
	s_load_dwordx8 s[8:15], s[6:7], 0x50
	s_load_dwordx2 s[38:39], s[6:7], 0x0
	s_add_u32 s4, s20, s2
	s_addc_u32 s5, s21, s3
	v_lshrrev_b32_e32 v14, 4, v15
	s_waitcnt lgkmcnt(0)
	s_add_u32 s2, s8, s2
	s_addc_u32 s3, s9, s3
	s_cmpk_lg_i32 s38, 0x6f
	s_cselect_b64 s[8:9], -1, 0
	s_cmpk_lg_i32 s39, 0x6f
	s_cselect_b64 s[20:21], -1, 0
	s_cmpk_eq_i32 s39, 0x6f
	s_cselect_b32 s33, s14, s12
	s_cselect_b32 s50, s15, s13
	s_cmpk_eq_i32 s38, 0x6f
	s_cselect_b32 s48, s24, s26
	s_cselect_b32 s49, s25, s27
	v_mul_lo_u32 v18, s49, v16
	v_mul_lo_u32 v17, s48, v17
	v_mad_u64_u32 v[12:13], s[48:49], s48, v16, 0
	v_add3_u32 v13, v13, v17, v18
	v_mad_u64_u32 v[16:17], s[48:49], s26, v14, 0
	v_mov_b32_e32 v18, v17
	v_mad_u64_u32 v[18:19], s[48:49], s27, v14, v[18:19]
	v_mov_b32_e32 v17, v18
	v_lshlrev_b64 v[12:13], 7, v[12:13]
	v_lshlrev_b64 v[16:17], 3, v[16:17]
	v_and_b32_e32 v0, 15, v15
	v_add_co_u32_e32 v22, vcc, v12, v16
	s_load_dwordx2 s[46:47], s[4:5], 0x0
	v_addc_co_u32_e32 v23, vcc, v13, v17, vcc
	v_mad_u64_u32 v[16:17], s[48:49], s24, v0, 0
	v_mov_b32_e32 v18, v17
	s_cmpk_eq_i32 s38, 0x71
	v_mad_u64_u32 v[18:19], s[48:49], s25, v0, v[18:19]
	s_cselect_b64 s[36:37], -1, 0
	s_cmpk_eq_i32 s39, 0x71
	v_mov_b32_e32 v17, v18
	s_cselect_b64 s[38:39], -1, 0
	v_lshlrev_b64 v[16:17], 3, v[16:17]
	s_lshl_b64 s[22:23], s[22:23], 3
	v_add_co_u32_e32 v16, vcc, v22, v16
	s_waitcnt lgkmcnt(0)
	s_add_u32 s48, s46, s22
	v_addc_co_u32_e32 v17, vcc, v23, v17, vcc
	s_addc_u32 s49, s47, s23
	v_mov_b32_e32 v18, s49
	v_add_co_u32_e32 v16, vcc, s48, v16
	v_addc_co_u32_e32 v17, vcc, v18, v17, vcc
	v_mad_u64_u32 v[18:19], s[46:47], s26, v10, 0
	v_mov_b32_e32 v22, v19
	s_lshl_b64 s[22:23], s[26:27], 5
	v_mad_u64_u32 v[22:23], s[26:27], s27, v10, v[22:23]
	v_mov_b32_e32 v19, v22
	v_lshlrev_b64 v[18:19], 3, v[18:19]
	v_add_co_u32_e32 v22, vcc, v12, v18
	v_addc_co_u32_e32 v23, vcc, v13, v19, vcc
	v_mad_u64_u32 v[12:13], s[26:27], s24, v28, 0
	v_mov_b32_e32 v18, v13
	v_mad_u64_u32 v[18:19], s[26:27], s25, v28, v[18:19]
	v_mov_b32_e32 v13, v18
	v_lshlrev_b64 v[12:13], 3, v[12:13]
	v_add_co_u32_e32 v12, vcc, v22, v12
	v_addc_co_u32_e32 v13, vcc, v23, v13, vcc
	v_mov_b32_e32 v19, s49
	v_add_co_u32_e32 v18, vcc, s48, v12
	v_addc_co_u32_e32 v19, vcc, v19, v13, vcc
	v_mul_lo_u32 v22, s50, v20
	v_mul_lo_u32 v21, s33, v21
	v_mad_u64_u32 v[12:13], s[26:27], s33, v20, 0
	v_add3_u32 v13, v13, v21, v22
	v_mad_u64_u32 v[20:21], s[26:27], s14, v10, 0
	v_mov_b32_e32 v22, v21
	v_mad_u64_u32 v[22:23], s[26:27], s15, v10, v[22:23]
	v_mov_b32_e32 v21, v22
	v_lshlrev_b64 v[12:13], 7, v[12:13]
	v_lshlrev_b64 v[20:21], 3, v[20:21]
	v_add_co_u32_e32 v24, vcc, v12, v20
	s_load_dwordx2 s[44:45], s[2:3], 0x0
	v_addc_co_u32_e32 v25, vcc, v13, v21, vcc
	v_mad_u64_u32 v[20:21], s[26:27], s12, v28, 0
	v_mov_b32_e32 v22, v21
	v_mad_u64_u32 v[22:23], s[26:27], s13, v28, v[22:23]
	v_mov_b32_e32 v21, v22
	s_lshl_b64 s[24:25], s[24:25], 5
	v_lshlrev_b64 v[20:21], 3, v[20:21]
	s_lshl_b64 s[10:11], s[10:11], 3
	v_add_co_u32_e32 v20, vcc, v24, v20
	s_waitcnt lgkmcnt(0)
	s_add_u32 s33, s44, s10
	v_addc_co_u32_e32 v21, vcc, v25, v21, vcc
	s_addc_u32 s44, s45, s11
	v_mov_b32_e32 v22, s44
	v_add_co_u32_e32 v20, vcc, s33, v20
	v_addc_co_u32_e32 v21, vcc, v22, v21, vcc
	v_mad_u64_u32 v[22:23], s[26:27], s14, v14, 0
	v_mov_b32_e32 v24, v23
	v_mad_u64_u32 v[24:25], s[26:27], s15, v14, v[24:25]
	v_mov_b32_e32 v23, v24
	v_lshlrev_b64 v[22:23], 3, v[22:23]
	v_add_co_u32_e32 v24, vcc, v12, v22
	v_addc_co_u32_e32 v25, vcc, v13, v23, vcc
	v_mad_u64_u32 v[12:13], s[26:27], s12, v0, 0
	v_mov_b32_e32 v22, v13
	s_lshl_b64 s[10:11], s[12:13], 5
	v_mad_u64_u32 v[22:23], s[12:13], s13, v0, v[22:23]
	v_mov_b32_e32 v13, v22
	v_mov_b32_e32 v1, 0
	v_lshlrev_b64 v[12:13], 3, v[12:13]
	v_lshl_or_b32 v26, v0, 2, v14
	v_cmp_lt_u64_e64 s[4:5], v[0:1], v[2:3]
	v_cmp_lt_u64_e64 s[6:7], v[0:1], v[8:9]
	v_add_co_u32_e32 v0, vcc, v24, v12
	v_addc_co_u32_e32 v12, vcc, v25, v13, vcc
	v_add_co_u32_e32 v22, vcc, s33, v0
	v_mbcnt_hi_u32_b32 v0, -1, v29
	v_mov_b32_e32 v13, s44
	v_and_or_b32 v0, v0, 64, v26
	v_cmp_lt_u64_e64 s[2:3], v[10:11], v[2:3]
	v_addc_co_u32_e32 v23, vcc, v13, v12, vcc
	s_lshl_b64 s[12:13], s[14:15], 5
	s_mov_b64 s[14:15], 0
	v_lshlrev_b32_e32 v31, 2, v0
	v_mov_b32_e32 v12, v1
	v_mov_b32_e32 v0, v1
	;; [unrolled: 1-line block ×3, first 2 shown]
	s_branch .LBB37_6
.LBB37_3:                               ;   in Loop: Header=BB37_6 Depth=1
	s_or_b64 exec, exec, s[44:45]
.LBB37_4:                               ;   in Loop: Header=BB37_6 Depth=1
	s_or_b64 exec, exec, s[26:27]
	s_waitcnt vmcnt(0)
	ds_bpermute_b32 v26, v31, v26
	ds_bpermute_b32 v27, v31, v27
.LBB37_5:                               ;   in Loop: Header=BB37_6 Depth=1
	s_waitcnt vmcnt(0) lgkmcnt(0)
	v_cndmask_b32_e64 v50, v25, -v25, s[36:37]
	v_cndmask_b32_e64 v27, v27, -v27, s[38:39]
	v_mfma_f32_16x16x4f32 v[32:35], v24, v26, 0
	v_add_co_u32_e32 v16, vcc, s22, v16
	s_add_u32 s14, s14, 4
	s_addc_u32 s15, s15, 0
	v_mfma_f32_16x16x4f32 v[40:43], v50, v27, 0
	v_mfma_f32_16x16x4f32 v[36:39], v24, v27, 0
	ds_read2_b32 v[24:25], v30 offset1:1
	ds_read2_b32 v[44:45], v30 offset0:3 offset1:4
	ds_read2_b32 v[46:47], v30 offset0:2 offset1:3
	;; [unrolled: 1-line block ×3, first 2 shown]
	s_nop 5
	v_sub_f32_e32 v35, v35, v43
	v_sub_f32_e32 v34, v34, v42
	;; [unrolled: 1-line block ×4, first 2 shown]
	s_waitcnt lgkmcnt(1)
	v_mov_b32_e32 v25, v46
	v_pk_add_f32 v[24:25], v[24:25], v[32:33]
	v_pk_add_f32 v[12:13], v[12:13], v[34:35]
	v_mfma_f32_16x16x4f32 v[32:35], v50, v26, 0
	s_waitcnt lgkmcnt(0)
	v_mov_b32_e32 v49, v44
	s_nop 7
	s_nop 0
	v_pk_add_f32 v[26:27], v[38:39], v[34:35]
	v_pk_add_f32 v[32:33], v[36:37], v[32:33]
	;; [unrolled: 1-line block ×4, first 2 shown]
	ds_write2_b32 v30, v24, v26 offset1:1
	ds_write2_b32 v30, v25, v27 offset0:2 offset1:3
	ds_write_b32 v30, v12 offset:16
	v_mov_b32_e32 v24, s23
	v_addc_co_u32_e32 v17, vcc, v17, v24, vcc
	v_mov_b32_e32 v24, s25
	v_add_co_u32_e32 v18, vcc, s24, v18
	v_addc_co_u32_e32 v19, vcc, v19, v24, vcc
	v_mov_b32_e32 v24, s11
	v_add_co_u32_e32 v20, vcc, s10, v20
	;; [unrolled: 3-line block ×3, first 2 shown]
	v_addc_co_u32_e32 v23, vcc, v23, v24, vcc
	v_pk_mov_b32 v[32:33], s[16:17], s[16:17] op_sel:[0,1]
	v_cmp_ge_i64_e32 vcc, s[14:15], v[32:33]
	s_cbranch_vccnz .LBB37_28
.LBB37_6:                               ; =>This Inner Loop Header: Depth=1
	s_and_b64 vcc, exec, s[8:9]
	s_cbranch_vccz .LBB37_18
; %bb.7:                                ;   in Loop: Header=BB37_6 Depth=1
	v_mov_b32_e32 v24, 0
	v_mov_b32_e32 v25, 0
	s_and_saveexec_b64 s[26:27], s[2:3]
	s_cbranch_execz .LBB37_11
; %bb.8:                                ;   in Loop: Header=BB37_6 Depth=1
	v_mov_b32_e32 v25, s15
	v_add_co_u32_e32 v24, vcc, s14, v28
	v_addc_co_u32_e32 v25, vcc, 0, v25, vcc
	v_cmp_gt_i64_e32 vcc, s[16:17], v[24:25]
	v_mov_b32_e32 v25, 0
	v_mov_b32_e32 v24, 0
	s_and_saveexec_b64 s[44:45], vcc
	s_cbranch_execz .LBB37_10
; %bb.9:                                ;   in Loop: Header=BB37_6 Depth=1
	global_load_dwordx2 v[24:25], v[18:19], off
.LBB37_10:                              ;   in Loop: Header=BB37_6 Depth=1
	s_or_b64 exec, exec, s[44:45]
.LBB37_11:                              ;   in Loop: Header=BB37_6 Depth=1
	s_or_b64 exec, exec, s[26:27]
	s_waitcnt vmcnt(0)
	ds_bpermute_b32 v24, v31, v24
	ds_bpermute_b32 v25, v31, v25
.LBB37_12:                              ;   in Loop: Header=BB37_6 Depth=1
	s_and_b64 vcc, exec, s[20:21]
	s_cbranch_vccz .LBB37_24
.LBB37_13:                              ;   in Loop: Header=BB37_6 Depth=1
	v_mov_b32_e32 v27, 0
	v_mov_b32_e32 v26, 0
	s_and_saveexec_b64 s[26:27], s[6:7]
	s_cbranch_execz .LBB37_17
; %bb.14:                               ;   in Loop: Header=BB37_6 Depth=1
	v_mov_b32_e32 v27, s15
	v_add_co_u32_e32 v26, vcc, s14, v14
	v_addc_co_u32_e32 v27, vcc, 0, v27, vcc
	v_cmp_gt_i64_e32 vcc, s[16:17], v[26:27]
	v_mov_b32_e32 v27, 0
	v_mov_b32_e32 v26, 0
	s_and_saveexec_b64 s[44:45], vcc
	s_cbranch_execz .LBB37_16
; %bb.15:                               ;   in Loop: Header=BB37_6 Depth=1
	global_load_dwordx2 v[26:27], v[22:23], off
.LBB37_16:                              ;   in Loop: Header=BB37_6 Depth=1
	s_or_b64 exec, exec, s[44:45]
.LBB37_17:                              ;   in Loop: Header=BB37_6 Depth=1
	s_or_b64 exec, exec, s[26:27]
	s_cbranch_execnz .LBB37_5
	s_branch .LBB37_25
.LBB37_18:                              ;   in Loop: Header=BB37_6 Depth=1
                                        ; implicit-def: $vgpr25
	s_cbranch_execz .LBB37_12
; %bb.19:                               ;   in Loop: Header=BB37_6 Depth=1
	s_waitcnt lgkmcnt(0)
	v_mov_b32_e32 v25, 0
	v_mov_b32_e32 v24, 0
	s_and_saveexec_b64 s[26:27], s[4:5]
	s_cbranch_execz .LBB37_23
; %bb.20:                               ;   in Loop: Header=BB37_6 Depth=1
	v_mov_b32_e32 v25, s15
	v_add_co_u32_e32 v24, vcc, s14, v14
	v_addc_co_u32_e32 v25, vcc, 0, v25, vcc
	v_cmp_gt_i64_e32 vcc, s[16:17], v[24:25]
	v_mov_b32_e32 v25, 0
	v_mov_b32_e32 v24, 0
	s_and_saveexec_b64 s[44:45], vcc
	s_cbranch_execz .LBB37_22
; %bb.21:                               ;   in Loop: Header=BB37_6 Depth=1
	global_load_dwordx2 v[24:25], v[16:17], off
.LBB37_22:                              ;   in Loop: Header=BB37_6 Depth=1
	s_or_b64 exec, exec, s[44:45]
.LBB37_23:                              ;   in Loop: Header=BB37_6 Depth=1
	s_or_b64 exec, exec, s[26:27]
	s_and_b64 vcc, exec, s[20:21]
	s_cbranch_vccnz .LBB37_13
.LBB37_24:                              ;   in Loop: Header=BB37_6 Depth=1
                                        ; implicit-def: $vgpr27
.LBB37_25:                              ;   in Loop: Header=BB37_6 Depth=1
	s_waitcnt vmcnt(0)
	v_mov_b32_e32 v26, 0
	v_mov_b32_e32 v27, 0
	s_and_saveexec_b64 s[26:27], s[0:1]
	s_cbranch_execz .LBB37_4
; %bb.26:                               ;   in Loop: Header=BB37_6 Depth=1
	v_mov_b32_e32 v27, s15
	v_add_co_u32_e32 v26, vcc, s14, v28
	v_addc_co_u32_e32 v27, vcc, 0, v27, vcc
	v_cmp_gt_i64_e32 vcc, s[16:17], v[26:27]
	v_mov_b32_e32 v27, 0
	v_mov_b32_e32 v26, 0
	s_and_saveexec_b64 s[44:45], vcc
	s_cbranch_execz .LBB37_3
; %bb.27:                               ;   in Loop: Header=BB37_6 Depth=1
	global_load_dwordx2 v[26:27], v[20:21], off
	s_branch .LBB37_3
.LBB37_28:
	ds_read_b32 v18, v30
.LBB37_29:
	s_lshl_b64 s[0:1], s[40:41], 3
	s_waitcnt lgkmcnt(0)
	s_add_u32 s2, s18, s0
	s_addc_u32 s3, s19, s1
	v_mul_lo_u32 v14, v7, s34
	v_mul_lo_u32 v16, v6, s35
	v_mad_u64_u32 v[6:7], s[0:1], v6, s34, 0
	v_add3_u32 v7, v7, v16, v14
	v_mul_lo_u32 v14, v5, s42
	v_mul_lo_u32 v16, v4, s43
	v_mad_u64_u32 v[4:5], s[0:1], v4, s42, 0
	v_lshlrev_b64 v[6:7], 3, v[6:7]
	v_add3_u32 v5, v5, v16, v14
	v_mov_b32_e32 v14, s3
	v_add_co_u32_e32 v6, vcc, s2, v6
	v_addc_co_u32_e32 v7, vcc, v14, v7, vcc
	v_lshlrev_b64 v[4:5], 3, v[4:5]
	v_add_co_u32_e32 v16, vcc, v6, v4
	v_lshl_or_b32 v6, v15, 4, v10
	v_addc_co_u32_e32 v17, vcc, v7, v5, vcc
	v_mbcnt_hi_u32_b32 v7, -1, v29
	v_and_b32_e32 v6, 63, v6
	v_and_or_b32 v6, v7, 64, v6
	v_lshlrev_b32_e32 v14, 2, v6
	v_mad_u64_u32 v[6:7], s[0:1], v10, s34, 0
	v_cmp_lt_u64_e32 vcc, v[10:11], v[8:9]
	v_mov_b32_e32 v8, v7
	v_mad_u64_u32 v[8:9], s[0:1], v10, s35, v[8:9]
	v_mov_b32_e32 v7, v8
	v_lshlrev_b64 v[8:9], 3, v[6:7]
	ds_bpermute_b32 v6, v14, v18
	ds_bpermute_b32 v7, v14, v26
	v_add_co_u32_e64 v10, s[0:1], v16, v8
	v_lshlrev_b32_e32 v4, 2, v28
	v_mov_b32_e32 v5, 0
	v_addc_co_u32_e64 v11, s[0:1], v17, v9, s[0:1]
	v_cmp_lt_u64_e64 s[0:1], v[4:5], v[2:3]
	s_and_b64 s[0:1], vcc, s[0:1]
	s_and_saveexec_b64 s[2:3], s[0:1]
	s_cbranch_execz .LBB37_31
; %bb.30:
	v_mad_u64_u32 v[8:9], s[0:1], v4, s42, 0
	v_mov_b32_e32 v16, v9
	v_mad_u64_u32 v[16:17], s[0:1], v4, s43, v[16:17]
	v_mov_b32_e32 v9, v16
	v_lshlrev_b64 v[8:9], 3, v[8:9]
	v_add_co_u32_e64 v8, s[0:1], v10, v8
	v_addc_co_u32_e64 v9, s[0:1], v11, v9, s[0:1]
	global_load_dwordx2 v[16:17], v[8:9], off
	s_waitcnt lgkmcnt(0)
	v_pk_mul_f32 v[18:19], s[30:31], v[6:7]
	v_mul_f32_e32 v7, s30, v7
	v_fmac_f32_e32 v7, s31, v6
	v_sub_f32_e32 v15, v18, v19
	s_waitcnt vmcnt(0)
	v_mul_f32_e32 v6, s29, v17
	v_mul_f32_e32 v17, s28, v17
	v_fma_f32 v6, s28, v16, -v6
	v_fmac_f32_e32 v17, s29, v16
	v_add_f32_e32 v6, v15, v6
	v_add_f32_e32 v7, v7, v17
	global_store_dwordx2 v[8:9], v[6:7], off
.LBB37_31:
	s_or_b64 exec, exec, s[2:3]
	s_waitcnt lgkmcnt(1)
	ds_bpermute_b32 v6, v14, v25
	s_waitcnt lgkmcnt(1)
	ds_bpermute_b32 v7, v14, v27
	v_or_b32_e32 v8, 1, v4
	v_mov_b32_e32 v9, v5
	v_cmp_lt_u64_e64 s[0:1], v[8:9], v[2:3]
	s_and_b64 s[0:1], vcc, s[0:1]
	s_and_saveexec_b64 s[2:3], s[0:1]
	s_cbranch_execz .LBB37_33
; %bb.32:
	v_mad_u64_u32 v[16:17], s[0:1], v8, s42, 0
	v_mov_b32_e32 v18, v17
	v_mad_u64_u32 v[8:9], s[0:1], v8, s43, v[18:19]
	v_mov_b32_e32 v17, v8
	v_lshlrev_b64 v[8:9], 3, v[16:17]
	v_add_co_u32_e64 v8, s[0:1], v10, v8
	v_addc_co_u32_e64 v9, s[0:1], v11, v9, s[0:1]
	global_load_dwordx2 v[16:17], v[8:9], off
	s_waitcnt lgkmcnt(1)
	v_mul_f32_e32 v15, s31, v6
	s_waitcnt lgkmcnt(0)
	v_pk_mul_f32 v[18:19], s[30:31], v[6:7]
	v_fmac_f32_e32 v15, s30, v7
	v_sub_f32_e32 v6, v18, v19
	s_waitcnt vmcnt(0)
	v_mul_f32_e32 v7, s29, v17
	v_mul_f32_e32 v17, s28, v17
	v_fma_f32 v7, s28, v16, -v7
	v_fmac_f32_e32 v17, s29, v16
	v_add_f32_e32 v6, v6, v7
	v_add_f32_e32 v7, v15, v17
	global_store_dwordx2 v[8:9], v[6:7], off
.LBB37_33:
	s_or_b64 exec, exec, s[2:3]
	s_waitcnt lgkmcnt(1)
	ds_bpermute_b32 v6, v14, v12
	s_waitcnt lgkmcnt(1)
	ds_bpermute_b32 v7, v14, v0
	v_or_b32_e32 v8, 2, v4
	v_mov_b32_e32 v9, v5
	v_cmp_lt_u64_e64 s[0:1], v[8:9], v[2:3]
	s_and_b64 s[0:1], vcc, s[0:1]
	s_and_saveexec_b64 s[2:3], s[0:1]
	s_cbranch_execz .LBB37_35
; %bb.34:
	v_mad_u64_u32 v[16:17], s[0:1], v8, s42, 0
	v_mov_b32_e32 v0, v17
	v_mad_u64_u32 v[8:9], s[0:1], v8, s43, v[0:1]
	v_mov_b32_e32 v17, v8
	v_lshlrev_b64 v[8:9], 3, v[16:17]
	v_add_co_u32_e64 v8, s[0:1], v10, v8
	v_addc_co_u32_e64 v9, s[0:1], v11, v9, s[0:1]
	global_load_dwordx2 v[16:17], v[8:9], off
	s_waitcnt lgkmcnt(1)
	v_mul_f32_e32 v0, s31, v6
	s_waitcnt lgkmcnt(0)
	v_pk_mul_f32 v[18:19], s[30:31], v[6:7]
	v_fmac_f32_e32 v0, s30, v7
	v_sub_f32_e32 v6, v18, v19
	s_waitcnt vmcnt(0)
	v_mul_f32_e32 v7, s29, v17
	v_mul_f32_e32 v12, s28, v17
	v_fma_f32 v7, s28, v16, -v7
	v_fmac_f32_e32 v12, s29, v16
	v_add_f32_e32 v6, v6, v7
	v_add_f32_e32 v7, v0, v12
	global_store_dwordx2 v[8:9], v[6:7], off
.LBB37_35:
	s_or_b64 exec, exec, s[2:3]
	ds_bpermute_b32 v0, v14, v13
	ds_bpermute_b32 v1, v14, v1
	v_or_b32_e32 v4, 3, v4
	v_cmp_lt_u64_e64 s[0:1], v[4:5], v[2:3]
	s_and_b64 s[0:1], vcc, s[0:1]
	s_and_b64 exec, exec, s[0:1]
	s_cbranch_execz .LBB37_37
; %bb.36:
	v_mad_u64_u32 v[2:3], s[0:1], v4, s42, 0
	s_waitcnt lgkmcnt(3)
	v_mov_b32_e32 v6, v3
	s_waitcnt lgkmcnt(2)
	v_mad_u64_u32 v[4:5], s[0:1], v4, s43, v[6:7]
	v_mov_b32_e32 v3, v4
	v_lshlrev_b64 v[2:3], 3, v[2:3]
	v_add_co_u32_e32 v2, vcc, v10, v2
	v_addc_co_u32_e32 v3, vcc, v11, v3, vcc
	global_load_dwordx2 v[4:5], v[2:3], off
	s_waitcnt lgkmcnt(0)
	v_pk_mul_f32 v[6:7], s[30:31], v[0:1]
	v_mov_b32_e32 v6, v1
	s_mov_b32 s0, s31
	v_mov_b32_e32 v8, v7
	v_pk_mul_f32 v[6:7], s[30:31], v[6:7] op_sel_hi:[1,0]
	v_pk_fma_f32 v[8:9], s[30:31], v[0:1], v[8:9] neg_lo:[0,0,1] neg_hi:[0,0,1]
	v_pk_fma_f32 v[0:1], s[0:1], v[0:1], v[6:7]
	s_mov_b32 s2, s29
	s_waitcnt vmcnt(0)
	v_pk_mul_f32 v[6:7], s[28:29], v[4:5]
	v_mov_b32_e32 v6, v5
	v_mov_b32_e32 v10, v7
	v_pk_mul_f32 v[6:7], s[28:29], v[6:7]
	v_pk_fma_f32 v[10:11], s[28:29], v[4:5], v[10:11] neg_lo:[0,0,1] neg_hi:[0,0,1]
	v_pk_fma_f32 v[4:5], s[2:3], v[4:5], v[6:7]
	v_pk_add_f32 v[6:7], v[8:9], v[10:11]
	v_pk_add_f32 v[0:1], v[0:1], v[4:5]
	v_mov_b32_e32 v7, v0
	global_store_dwordx2 v[2:3], v[6:7], off
.LBB37_37:
	s_endpgm
	.section	.rodata,"a",@progbits
	.p2align	6, 0x0
	.amdhsa_kernel _ZN9rocsolver6v33100L16mfma_gemm_kernelI19rocblas_complex_numIfElPKS3_PKPS3_S8_S8_EEv18rocblas_operation_S9_T0_SA_SA_T1_T2_lSA_SA_lT3_lSA_SA_lSB_T4_lSA_SA_l
		.amdhsa_group_segment_fixed_size 20480
		.amdhsa_private_segment_fixed_size 0
		.amdhsa_kernarg_size 424
		.amdhsa_user_sgpr_count 8
		.amdhsa_user_sgpr_private_segment_buffer 1
		.amdhsa_user_sgpr_dispatch_ptr 1
		.amdhsa_user_sgpr_queue_ptr 0
		.amdhsa_user_sgpr_kernarg_segment_ptr 1
		.amdhsa_user_sgpr_dispatch_id 0
		.amdhsa_user_sgpr_flat_scratch_init 0
		.amdhsa_user_sgpr_kernarg_preload_length 0
		.amdhsa_user_sgpr_kernarg_preload_offset 0
		.amdhsa_user_sgpr_private_segment_size 0
		.amdhsa_uses_dynamic_stack 0
		.amdhsa_system_sgpr_private_segment_wavefront_offset 0
		.amdhsa_system_sgpr_workgroup_id_x 1
		.amdhsa_system_sgpr_workgroup_id_y 1
		.amdhsa_system_sgpr_workgroup_id_z 1
		.amdhsa_system_sgpr_workgroup_info 0
		.amdhsa_system_vgpr_workitem_id 2
		.amdhsa_next_free_vgpr 51
		.amdhsa_next_free_sgpr 51
		.amdhsa_accum_offset 52
		.amdhsa_reserve_vcc 1
		.amdhsa_reserve_flat_scratch 0
		.amdhsa_float_round_mode_32 0
		.amdhsa_float_round_mode_16_64 0
		.amdhsa_float_denorm_mode_32 3
		.amdhsa_float_denorm_mode_16_64 3
		.amdhsa_dx10_clamp 1
		.amdhsa_ieee_mode 1
		.amdhsa_fp16_overflow 0
		.amdhsa_tg_split 0
		.amdhsa_exception_fp_ieee_invalid_op 0
		.amdhsa_exception_fp_denorm_src 0
		.amdhsa_exception_fp_ieee_div_zero 0
		.amdhsa_exception_fp_ieee_overflow 0
		.amdhsa_exception_fp_ieee_underflow 0
		.amdhsa_exception_fp_ieee_inexact 0
		.amdhsa_exception_int_div_zero 0
	.end_amdhsa_kernel
	.section	.text._ZN9rocsolver6v33100L16mfma_gemm_kernelI19rocblas_complex_numIfElPKS3_PKPS3_S8_S8_EEv18rocblas_operation_S9_T0_SA_SA_T1_T2_lSA_SA_lT3_lSA_SA_lSB_T4_lSA_SA_l,"axG",@progbits,_ZN9rocsolver6v33100L16mfma_gemm_kernelI19rocblas_complex_numIfElPKS3_PKPS3_S8_S8_EEv18rocblas_operation_S9_T0_SA_SA_T1_T2_lSA_SA_lT3_lSA_SA_lSB_T4_lSA_SA_l,comdat
.Lfunc_end37:
	.size	_ZN9rocsolver6v33100L16mfma_gemm_kernelI19rocblas_complex_numIfElPKS3_PKPS3_S8_S8_EEv18rocblas_operation_S9_T0_SA_SA_T1_T2_lSA_SA_lT3_lSA_SA_lSB_T4_lSA_SA_l, .Lfunc_end37-_ZN9rocsolver6v33100L16mfma_gemm_kernelI19rocblas_complex_numIfElPKS3_PKPS3_S8_S8_EEv18rocblas_operation_S9_T0_SA_SA_T1_T2_lSA_SA_lT3_lSA_SA_lSB_T4_lSA_SA_l
                                        ; -- End function
	.section	.AMDGPU.csdata,"",@progbits
; Kernel info:
; codeLenInByte = 2660
; NumSgprs: 55
; NumVgprs: 51
; NumAgprs: 0
; TotalNumVgprs: 51
; ScratchSize: 0
; MemoryBound: 0
; FloatMode: 240
; IeeeMode: 1
; LDSByteSize: 20480 bytes/workgroup (compile time only)
; SGPRBlocks: 6
; VGPRBlocks: 6
; NumSGPRsForWavesPerEU: 55
; NumVGPRsForWavesPerEU: 51
; AccumOffset: 52
; Occupancy: 8
; WaveLimiterHint : 1
; COMPUTE_PGM_RSRC2:SCRATCH_EN: 0
; COMPUTE_PGM_RSRC2:USER_SGPR: 8
; COMPUTE_PGM_RSRC2:TRAP_HANDLER: 0
; COMPUTE_PGM_RSRC2:TGID_X_EN: 1
; COMPUTE_PGM_RSRC2:TGID_Y_EN: 1
; COMPUTE_PGM_RSRC2:TGID_Z_EN: 1
; COMPUTE_PGM_RSRC2:TIDIG_COMP_CNT: 2
; COMPUTE_PGM_RSRC3_GFX90A:ACCUM_OFFSET: 12
; COMPUTE_PGM_RSRC3_GFX90A:TG_SPLIT: 0
	.section	.text._ZN9rocsolver6v33100L16mfma_gemm_kernelI19rocblas_complex_numIfElS3_PKPS3_S6_S6_EEv18rocblas_operation_S7_T0_S8_S8_T1_T2_lS8_S8_lT3_lS8_S8_lS9_T4_lS8_S8_l,"axG",@progbits,_ZN9rocsolver6v33100L16mfma_gemm_kernelI19rocblas_complex_numIfElS3_PKPS3_S6_S6_EEv18rocblas_operation_S7_T0_S8_S8_T1_T2_lS8_S8_lT3_lS8_S8_lS9_T4_lS8_S8_l,comdat
	.globl	_ZN9rocsolver6v33100L16mfma_gemm_kernelI19rocblas_complex_numIfElS3_PKPS3_S6_S6_EEv18rocblas_operation_S7_T0_S8_S8_T1_T2_lS8_S8_lT3_lS8_S8_lS9_T4_lS8_S8_l ; -- Begin function _ZN9rocsolver6v33100L16mfma_gemm_kernelI19rocblas_complex_numIfElS3_PKPS3_S6_S6_EEv18rocblas_operation_S7_T0_S8_S8_T1_T2_lS8_S8_lT3_lS8_S8_lS9_T4_lS8_S8_l
	.p2align	8
	.type	_ZN9rocsolver6v33100L16mfma_gemm_kernelI19rocblas_complex_numIfElS3_PKPS3_S6_S6_EEv18rocblas_operation_S7_T0_S8_S8_T1_T2_lS8_S8_lT3_lS8_S8_lS9_T4_lS8_S8_l,@function
_ZN9rocsolver6v33100L16mfma_gemm_kernelI19rocblas_complex_numIfElS3_PKPS3_S6_S6_EEv18rocblas_operation_S7_T0_S8_S8_T1_T2_lS8_S8_lT3_lS8_S8_lS9_T4_lS8_S8_l: ; @_ZN9rocsolver6v33100L16mfma_gemm_kernelI19rocblas_complex_numIfElS3_PKPS3_S6_S6_EEv18rocblas_operation_S7_T0_S8_S8_T1_T2_lS8_S8_lT3_lS8_S8_lS9_T4_lS8_S8_l
; %bb.0:
	s_load_dword s0, s[6:7], 0xb4
	s_load_dwordx4 s[20:23], s[6:7], 0x8
	v_and_b32_e32 v1, 0x3ff, v0
	v_lshrrev_b32_e32 v2, 6, v1
	v_mov_b32_e32 v3, 0
	s_waitcnt lgkmcnt(0)
	s_lshr_b32 s2, s0, 16
	s_bfe_u32 s0, s0, 0xa0006
	v_mov_b32_e32 v4, s8
	v_bfe_u32 v8, v0, 10, 10
	v_mov_b32_e32 v9, v3
	v_mad_u64_u32 v[16:17], s[0:1], s0, v4, v[2:3]
	v_mov_b32_e32 v2, s9
	v_mad_u64_u32 v[20:21], s[0:1], s2, v2, v[8:9]
	v_lshlrev_b64 v[4:5], 4, v[16:17]
	v_lshlrev_b64 v[6:7], 4, v[20:21]
	v_cmp_gt_i64_e32 vcc, s[20:21], v[4:5]
	v_cmp_gt_i64_e64 s[0:1], s[22:23], v[6:7]
	s_mov_b32 s11, 0
	s_and_b64 s[0:1], vcc, s[0:1]
	s_and_saveexec_b64 s[2:3], s[0:1]
	s_cbranch_execz .LBB38_37
; %bb.1:
	s_load_dwordx2 s[0:1], s[4:5], 0x4
	s_load_dwordx8 s[12:19], s[6:7], 0x80
	v_bfe_u32 v0, v0, 20, 10
	s_lshl_b64 s[2:3], s[10:11], 3
	s_load_dwordx4 s[28:31], s[6:7], 0x18
	s_load_dwordx2 s[8:9], s[6:7], 0x78
	s_waitcnt lgkmcnt(0)
	s_lshr_b32 s0, s0, 16
	s_mul_i32 s0, s0, s1
	v_mul_u32_u24_e32 v2, s1, v8
	v_mul_lo_u32 v8, s0, v1
	v_add3_u32 v0, v8, v2, v0
	v_add_co_u32_e32 v8, vcc, 16, v4
	v_addc_co_u32_e32 v9, vcc, 0, v5, vcc
	s_and_b32 s0, s20, 15
	v_mul_lo_u32 v30, v0, 20
	v_mov_b32_e32 v0, s0
	v_cmp_lt_u64_e32 vcc, s[20:21], v[8:9]
	s_and_b32 s0, s22, 15
	v_cndmask_b32_e32 v2, 16, v0, vcc
	v_mov_b32_e32 v0, s0
	s_add_u32 s0, s12, s2
	s_addc_u32 s1, s13, s3
	v_add_co_u32_e32 v8, vcc, 16, v6
	s_load_dwordx2 s[10:11], s[0:1], 0x0
	v_addc_co_u32_e32 v9, vcc, 0, v7, vcc
	v_cmp_lt_u64_e32 vcc, s[22:23], v[8:9]
	v_cndmask_b32_e32 v8, 16, v0, vcc
	v_mov_b32_e32 v9, v3
	v_bfe_u32 v10, v1, 2, 4
	v_mov_b32_e32 v11, v3
	v_cmp_lt_i64_e64 s[0:1], s[28:29], 1
	v_and_b32_e32 v15, 63, v1
	v_and_b32_e32 v28, 3, v1
	s_and_b64 vcc, exec, s[0:1]
	v_cmp_lt_u64_e64 s[0:1], v[10:11], v[8:9]
	v_mbcnt_lo_u32_b32 v29, -1, 0
	v_mov_b32_e32 v13, v3
	v_mov_b32_e32 v0, v3
	;; [unrolled: 1-line block ×8, first 2 shown]
	ds_write2_b32 v30, v3, v3 offset0:2 offset1:3
	ds_write2_b32 v30, v3, v3 offset1:1
	ds_write_b32 v30, v3 offset:16
	s_cbranch_vccnz .LBB38_29
; %bb.2:
	s_load_dwordx8 s[36:43], s[6:7], 0x28
	s_load_dwordx8 s[20:27], s[6:7], 0x50
	s_load_dwordx2 s[46:47], s[6:7], 0x0
	v_lshrrev_b32_e32 v14, 4, v15
	v_and_b32_e32 v0, 15, v15
	s_waitcnt lgkmcnt(0)
	s_add_u32 s4, s36, s2
	s_addc_u32 s5, s37, s3
	s_add_u32 s2, s20, s2
	s_addc_u32 s3, s21, s3
	s_cmpk_lg_i32 s46, 0x6f
	s_cselect_b64 s[12:13], -1, 0
	s_cmpk_lg_i32 s47, 0x6f
	s_cselect_b64 s[20:21], -1, 0
	s_cmpk_eq_i32 s47, 0x6f
	s_cselect_b32 s33, s26, s24
	s_cselect_b32 s50, s27, s25
	s_cmpk_eq_i32 s46, 0x6f
	s_cselect_b32 s51, s40, s42
	s_cselect_b32 s52, s41, s43
	s_cmpk_eq_i32 s46, 0x71
	s_cselect_b64 s[34:35], -1, 0
	s_cmpk_eq_i32 s47, 0x71
	v_mul_lo_u32 v18, s52, v16
	v_mul_lo_u32 v17, s51, v17
	v_mad_u64_u32 v[12:13], s[46:47], s51, v16, 0
	v_add3_u32 v13, v13, v17, v18
	v_mad_u64_u32 v[16:17], s[46:47], s42, v14, 0
	v_mov_b32_e32 v18, v17
	v_mad_u64_u32 v[18:19], s[46:47], s43, v14, v[18:19]
	v_mov_b32_e32 v17, v18
	v_lshlrev_b64 v[12:13], 7, v[12:13]
	v_lshlrev_b64 v[16:17], 3, v[16:17]
	v_add_co_u32_e32 v22, vcc, v12, v16
	s_load_dwordx2 s[48:49], s[4:5], 0x0
	v_addc_co_u32_e32 v23, vcc, v13, v17, vcc
	v_mad_u64_u32 v[16:17], s[46:47], s40, v0, 0
	v_mov_b32_e32 v18, v17
	v_mad_u64_u32 v[18:19], s[46:47], s41, v0, v[18:19]
	v_mov_b32_e32 v17, v18
	s_cselect_b64 s[36:37], -1, 0
	v_lshlrev_b64 v[16:17], 3, v[16:17]
	s_lshl_b64 s[38:39], s[38:39], 3
	v_add_co_u32_e32 v16, vcc, v22, v16
	s_waitcnt lgkmcnt(0)
	s_add_u32 s48, s48, s38
	v_addc_co_u32_e32 v17, vcc, v23, v17, vcc
	s_addc_u32 s49, s49, s39
	v_mov_b32_e32 v18, s49
	v_add_co_u32_e32 v16, vcc, s48, v16
	v_addc_co_u32_e32 v17, vcc, v18, v17, vcc
	v_mad_u64_u32 v[18:19], s[46:47], s42, v10, 0
	v_mov_b32_e32 v22, v19
	s_lshl_b64 s[38:39], s[42:43], 5
	v_mad_u64_u32 v[22:23], s[42:43], s43, v10, v[22:23]
	v_mov_b32_e32 v19, v22
	v_lshlrev_b64 v[18:19], 3, v[18:19]
	v_add_co_u32_e32 v22, vcc, v12, v18
	v_addc_co_u32_e32 v23, vcc, v13, v19, vcc
	v_mad_u64_u32 v[12:13], s[42:43], s40, v28, 0
	v_mov_b32_e32 v18, v13
	v_mad_u64_u32 v[18:19], s[42:43], s41, v28, v[18:19]
	v_mov_b32_e32 v13, v18
	v_lshlrev_b64 v[12:13], 3, v[12:13]
	v_add_co_u32_e32 v12, vcc, v22, v12
	v_addc_co_u32_e32 v13, vcc, v23, v13, vcc
	v_mov_b32_e32 v19, s49
	v_add_co_u32_e32 v18, vcc, s48, v12
	v_addc_co_u32_e32 v19, vcc, v19, v13, vcc
	v_mul_lo_u32 v22, s50, v20
	v_mul_lo_u32 v21, s33, v21
	v_mad_u64_u32 v[12:13], s[42:43], s33, v20, 0
	v_add3_u32 v13, v13, v21, v22
	v_mad_u64_u32 v[20:21], s[42:43], s26, v10, 0
	v_mov_b32_e32 v22, v21
	v_mad_u64_u32 v[22:23], s[42:43], s27, v10, v[22:23]
	v_mov_b32_e32 v21, v22
	v_lshlrev_b64 v[12:13], 7, v[12:13]
	v_lshlrev_b64 v[20:21], 3, v[20:21]
	v_add_co_u32_e32 v24, vcc, v12, v20
	s_load_dwordx2 s[44:45], s[2:3], 0x0
	v_addc_co_u32_e32 v25, vcc, v13, v21, vcc
	v_mad_u64_u32 v[20:21], s[42:43], s24, v28, 0
	v_mov_b32_e32 v22, v21
	v_mad_u64_u32 v[22:23], s[42:43], s25, v28, v[22:23]
	v_mov_b32_e32 v21, v22
	s_lshl_b64 s[40:41], s[40:41], 5
	v_lshlrev_b64 v[20:21], 3, v[20:21]
	s_lshl_b64 s[22:23], s[22:23], 3
	v_add_co_u32_e32 v20, vcc, v24, v20
	s_waitcnt lgkmcnt(0)
	s_add_u32 s33, s44, s22
	v_addc_co_u32_e32 v21, vcc, v25, v21, vcc
	s_addc_u32 s44, s45, s23
	v_mov_b32_e32 v22, s44
	v_add_co_u32_e32 v20, vcc, s33, v20
	v_addc_co_u32_e32 v21, vcc, v22, v21, vcc
	v_mad_u64_u32 v[22:23], s[42:43], s26, v14, 0
	v_mov_b32_e32 v24, v23
	v_mad_u64_u32 v[24:25], s[42:43], s27, v14, v[24:25]
	v_mov_b32_e32 v23, v24
	v_lshlrev_b64 v[22:23], 3, v[22:23]
	v_add_co_u32_e32 v24, vcc, v12, v22
	v_addc_co_u32_e32 v25, vcc, v13, v23, vcc
	v_mad_u64_u32 v[12:13], s[42:43], s24, v0, 0
	v_mov_b32_e32 v22, v13
	s_lshl_b64 s[22:23], s[24:25], 5
	v_mad_u64_u32 v[22:23], s[24:25], s25, v0, v[22:23]
	v_mov_b32_e32 v13, v22
	v_mov_b32_e32 v1, 0
	v_lshlrev_b64 v[12:13], 3, v[12:13]
	v_lshl_or_b32 v26, v0, 2, v14
	v_cmp_lt_u64_e64 s[4:5], v[0:1], v[2:3]
	v_cmp_lt_u64_e64 s[6:7], v[0:1], v[8:9]
	v_add_co_u32_e32 v0, vcc, v24, v12
	v_addc_co_u32_e32 v12, vcc, v25, v13, vcc
	v_add_co_u32_e32 v22, vcc, s33, v0
	v_mbcnt_hi_u32_b32 v0, -1, v29
	v_mov_b32_e32 v13, s44
	v_and_or_b32 v0, v0, 64, v26
	v_cmp_lt_u64_e64 s[2:3], v[10:11], v[2:3]
	v_addc_co_u32_e32 v23, vcc, v13, v12, vcc
	s_lshl_b64 s[24:25], s[26:27], 5
	s_mov_b64 s[26:27], 0
	v_lshlrev_b32_e32 v31, 2, v0
	v_mov_b32_e32 v12, v1
	v_mov_b32_e32 v0, v1
	;; [unrolled: 1-line block ×3, first 2 shown]
	s_branch .LBB38_6
.LBB38_3:                               ;   in Loop: Header=BB38_6 Depth=1
	s_or_b64 exec, exec, s[44:45]
.LBB38_4:                               ;   in Loop: Header=BB38_6 Depth=1
	s_or_b64 exec, exec, s[42:43]
	s_waitcnt vmcnt(0)
	ds_bpermute_b32 v26, v31, v26
	ds_bpermute_b32 v27, v31, v27
.LBB38_5:                               ;   in Loop: Header=BB38_6 Depth=1
	s_waitcnt vmcnt(0) lgkmcnt(0)
	v_cndmask_b32_e64 v50, v25, -v25, s[34:35]
	v_cndmask_b32_e64 v27, v27, -v27, s[36:37]
	v_mfma_f32_16x16x4f32 v[32:35], v24, v26, 0
	v_add_co_u32_e32 v16, vcc, s38, v16
	s_add_u32 s26, s26, 4
	s_addc_u32 s27, s27, 0
	v_mfma_f32_16x16x4f32 v[40:43], v50, v27, 0
	v_mfma_f32_16x16x4f32 v[36:39], v24, v27, 0
	ds_read2_b32 v[24:25], v30 offset1:1
	ds_read2_b32 v[44:45], v30 offset0:3 offset1:4
	ds_read2_b32 v[46:47], v30 offset0:2 offset1:3
	;; [unrolled: 1-line block ×3, first 2 shown]
	s_nop 5
	v_sub_f32_e32 v35, v35, v43
	v_sub_f32_e32 v34, v34, v42
	;; [unrolled: 1-line block ×4, first 2 shown]
	s_waitcnt lgkmcnt(1)
	v_mov_b32_e32 v25, v46
	v_pk_add_f32 v[24:25], v[24:25], v[32:33]
	v_pk_add_f32 v[12:13], v[12:13], v[34:35]
	v_mfma_f32_16x16x4f32 v[32:35], v50, v26, 0
	s_waitcnt lgkmcnt(0)
	v_mov_b32_e32 v49, v44
	s_nop 7
	s_nop 0
	v_pk_add_f32 v[26:27], v[38:39], v[34:35]
	v_pk_add_f32 v[32:33], v[36:37], v[32:33]
	;; [unrolled: 1-line block ×4, first 2 shown]
	ds_write2_b32 v30, v24, v26 offset1:1
	ds_write2_b32 v30, v25, v27 offset0:2 offset1:3
	ds_write_b32 v30, v12 offset:16
	v_mov_b32_e32 v24, s39
	v_addc_co_u32_e32 v17, vcc, v17, v24, vcc
	v_mov_b32_e32 v24, s41
	v_add_co_u32_e32 v18, vcc, s40, v18
	v_addc_co_u32_e32 v19, vcc, v19, v24, vcc
	v_mov_b32_e32 v24, s23
	v_add_co_u32_e32 v20, vcc, s22, v20
	;; [unrolled: 3-line block ×3, first 2 shown]
	v_addc_co_u32_e32 v23, vcc, v23, v24, vcc
	v_pk_mov_b32 v[32:33], s[28:29], s[28:29] op_sel:[0,1]
	v_cmp_ge_i64_e32 vcc, s[26:27], v[32:33]
	s_cbranch_vccnz .LBB38_28
.LBB38_6:                               ; =>This Inner Loop Header: Depth=1
	s_and_b64 vcc, exec, s[12:13]
	s_cbranch_vccz .LBB38_18
; %bb.7:                                ;   in Loop: Header=BB38_6 Depth=1
	v_mov_b32_e32 v24, 0
	v_mov_b32_e32 v25, 0
	s_and_saveexec_b64 s[42:43], s[2:3]
	s_cbranch_execz .LBB38_11
; %bb.8:                                ;   in Loop: Header=BB38_6 Depth=1
	v_mov_b32_e32 v25, s27
	v_add_co_u32_e32 v24, vcc, s26, v28
	v_addc_co_u32_e32 v25, vcc, 0, v25, vcc
	v_cmp_gt_i64_e32 vcc, s[28:29], v[24:25]
	v_mov_b32_e32 v25, 0
	v_mov_b32_e32 v24, 0
	s_and_saveexec_b64 s[44:45], vcc
	s_cbranch_execz .LBB38_10
; %bb.9:                                ;   in Loop: Header=BB38_6 Depth=1
	global_load_dwordx2 v[24:25], v[18:19], off
.LBB38_10:                              ;   in Loop: Header=BB38_6 Depth=1
	s_or_b64 exec, exec, s[44:45]
.LBB38_11:                              ;   in Loop: Header=BB38_6 Depth=1
	s_or_b64 exec, exec, s[42:43]
	s_waitcnt vmcnt(0)
	ds_bpermute_b32 v24, v31, v24
	ds_bpermute_b32 v25, v31, v25
.LBB38_12:                              ;   in Loop: Header=BB38_6 Depth=1
	s_and_b64 vcc, exec, s[20:21]
	s_cbranch_vccz .LBB38_24
.LBB38_13:                              ;   in Loop: Header=BB38_6 Depth=1
	v_mov_b32_e32 v27, 0
	v_mov_b32_e32 v26, 0
	s_and_saveexec_b64 s[42:43], s[6:7]
	s_cbranch_execz .LBB38_17
; %bb.14:                               ;   in Loop: Header=BB38_6 Depth=1
	v_mov_b32_e32 v27, s27
	v_add_co_u32_e32 v26, vcc, s26, v14
	v_addc_co_u32_e32 v27, vcc, 0, v27, vcc
	v_cmp_gt_i64_e32 vcc, s[28:29], v[26:27]
	v_mov_b32_e32 v27, 0
	v_mov_b32_e32 v26, 0
	s_and_saveexec_b64 s[44:45], vcc
	s_cbranch_execz .LBB38_16
; %bb.15:                               ;   in Loop: Header=BB38_6 Depth=1
	global_load_dwordx2 v[26:27], v[22:23], off
.LBB38_16:                              ;   in Loop: Header=BB38_6 Depth=1
	s_or_b64 exec, exec, s[44:45]
.LBB38_17:                              ;   in Loop: Header=BB38_6 Depth=1
	s_or_b64 exec, exec, s[42:43]
	s_cbranch_execnz .LBB38_5
	s_branch .LBB38_25
.LBB38_18:                              ;   in Loop: Header=BB38_6 Depth=1
                                        ; implicit-def: $vgpr25
	s_cbranch_execz .LBB38_12
; %bb.19:                               ;   in Loop: Header=BB38_6 Depth=1
	s_waitcnt lgkmcnt(0)
	v_mov_b32_e32 v25, 0
	v_mov_b32_e32 v24, 0
	s_and_saveexec_b64 s[42:43], s[4:5]
	s_cbranch_execz .LBB38_23
; %bb.20:                               ;   in Loop: Header=BB38_6 Depth=1
	v_mov_b32_e32 v25, s27
	v_add_co_u32_e32 v24, vcc, s26, v14
	v_addc_co_u32_e32 v25, vcc, 0, v25, vcc
	v_cmp_gt_i64_e32 vcc, s[28:29], v[24:25]
	v_mov_b32_e32 v25, 0
	v_mov_b32_e32 v24, 0
	s_and_saveexec_b64 s[44:45], vcc
	s_cbranch_execz .LBB38_22
; %bb.21:                               ;   in Loop: Header=BB38_6 Depth=1
	global_load_dwordx2 v[24:25], v[16:17], off
.LBB38_22:                              ;   in Loop: Header=BB38_6 Depth=1
	s_or_b64 exec, exec, s[44:45]
.LBB38_23:                              ;   in Loop: Header=BB38_6 Depth=1
	s_or_b64 exec, exec, s[42:43]
	s_and_b64 vcc, exec, s[20:21]
	s_cbranch_vccnz .LBB38_13
.LBB38_24:                              ;   in Loop: Header=BB38_6 Depth=1
                                        ; implicit-def: $vgpr27
.LBB38_25:                              ;   in Loop: Header=BB38_6 Depth=1
	s_waitcnt vmcnt(0)
	v_mov_b32_e32 v26, 0
	v_mov_b32_e32 v27, 0
	s_and_saveexec_b64 s[42:43], s[0:1]
	s_cbranch_execz .LBB38_4
; %bb.26:                               ;   in Loop: Header=BB38_6 Depth=1
	v_mov_b32_e32 v27, s27
	v_add_co_u32_e32 v26, vcc, s26, v28
	v_addc_co_u32_e32 v27, vcc, 0, v27, vcc
	v_cmp_gt_i64_e32 vcc, s[28:29], v[26:27]
	v_mov_b32_e32 v27, 0
	v_mov_b32_e32 v26, 0
	s_and_saveexec_b64 s[44:45], vcc
	s_cbranch_execz .LBB38_3
; %bb.27:                               ;   in Loop: Header=BB38_6 Depth=1
	global_load_dwordx2 v[26:27], v[20:21], off
	s_branch .LBB38_3
.LBB38_28:
	ds_read_b32 v18, v30
.LBB38_29:
	s_lshl_b64 s[0:1], s[14:15], 3
	s_waitcnt lgkmcnt(0)
	s_add_u32 s2, s10, s0
	s_addc_u32 s3, s11, s1
	v_mul_lo_u32 v14, v7, s18
	v_mul_lo_u32 v16, v6, s19
	v_mad_u64_u32 v[6:7], s[0:1], v6, s18, 0
	v_add3_u32 v7, v7, v16, v14
	v_mul_lo_u32 v14, v5, s16
	v_mul_lo_u32 v16, v4, s17
	v_mad_u64_u32 v[4:5], s[0:1], v4, s16, 0
	v_lshlrev_b64 v[6:7], 3, v[6:7]
	v_add3_u32 v5, v5, v16, v14
	v_mov_b32_e32 v14, s3
	v_add_co_u32_e32 v6, vcc, s2, v6
	v_addc_co_u32_e32 v7, vcc, v14, v7, vcc
	v_lshlrev_b64 v[4:5], 3, v[4:5]
	v_add_co_u32_e32 v16, vcc, v6, v4
	v_lshl_or_b32 v6, v15, 4, v10
	v_addc_co_u32_e32 v17, vcc, v7, v5, vcc
	v_mbcnt_hi_u32_b32 v7, -1, v29
	v_and_b32_e32 v6, 63, v6
	v_and_or_b32 v6, v7, 64, v6
	v_lshlrev_b32_e32 v14, 2, v6
	v_mad_u64_u32 v[6:7], s[0:1], v10, s18, 0
	v_cmp_lt_u64_e32 vcc, v[10:11], v[8:9]
	v_mov_b32_e32 v8, v7
	v_mad_u64_u32 v[8:9], s[0:1], v10, s19, v[8:9]
	v_mov_b32_e32 v7, v8
	v_lshlrev_b64 v[8:9], 3, v[6:7]
	ds_bpermute_b32 v6, v14, v18
	ds_bpermute_b32 v7, v14, v26
	v_add_co_u32_e64 v10, s[0:1], v16, v8
	v_lshlrev_b32_e32 v4, 2, v28
	v_mov_b32_e32 v5, 0
	v_addc_co_u32_e64 v11, s[0:1], v17, v9, s[0:1]
	v_cmp_lt_u64_e64 s[0:1], v[4:5], v[2:3]
	s_and_b64 s[0:1], vcc, s[0:1]
	s_and_saveexec_b64 s[2:3], s[0:1]
	s_cbranch_execz .LBB38_31
; %bb.30:
	v_mad_u64_u32 v[8:9], s[0:1], v4, s16, 0
	v_mov_b32_e32 v16, v9
	v_mad_u64_u32 v[16:17], s[0:1], v4, s17, v[16:17]
	v_mov_b32_e32 v9, v16
	v_lshlrev_b64 v[8:9], 3, v[8:9]
	v_add_co_u32_e64 v8, s[0:1], v10, v8
	v_addc_co_u32_e64 v9, s[0:1], v11, v9, s[0:1]
	global_load_dwordx2 v[16:17], v[8:9], off
	s_waitcnt lgkmcnt(0)
	v_pk_mul_f32 v[18:19], s[30:31], v[6:7]
	v_mul_f32_e32 v7, s30, v7
	v_fmac_f32_e32 v7, s31, v6
	v_sub_f32_e32 v15, v18, v19
	s_waitcnt vmcnt(0)
	v_mul_f32_e32 v6, s9, v17
	v_mul_f32_e32 v17, s8, v17
	v_fma_f32 v6, s8, v16, -v6
	v_fmac_f32_e32 v17, s9, v16
	v_add_f32_e32 v6, v15, v6
	v_add_f32_e32 v7, v7, v17
	global_store_dwordx2 v[8:9], v[6:7], off
.LBB38_31:
	s_or_b64 exec, exec, s[2:3]
	s_waitcnt lgkmcnt(1)
	ds_bpermute_b32 v6, v14, v25
	s_waitcnt lgkmcnt(1)
	ds_bpermute_b32 v7, v14, v27
	v_or_b32_e32 v8, 1, v4
	v_mov_b32_e32 v9, v5
	v_cmp_lt_u64_e64 s[0:1], v[8:9], v[2:3]
	s_and_b64 s[0:1], vcc, s[0:1]
	s_and_saveexec_b64 s[2:3], s[0:1]
	s_cbranch_execz .LBB38_33
; %bb.32:
	v_mad_u64_u32 v[16:17], s[0:1], v8, s16, 0
	v_mov_b32_e32 v18, v17
	v_mad_u64_u32 v[8:9], s[0:1], v8, s17, v[18:19]
	v_mov_b32_e32 v17, v8
	v_lshlrev_b64 v[8:9], 3, v[16:17]
	v_add_co_u32_e64 v8, s[0:1], v10, v8
	v_addc_co_u32_e64 v9, s[0:1], v11, v9, s[0:1]
	global_load_dwordx2 v[16:17], v[8:9], off
	s_waitcnt lgkmcnt(1)
	v_mul_f32_e32 v15, s31, v6
	s_waitcnt lgkmcnt(0)
	v_pk_mul_f32 v[18:19], s[30:31], v[6:7]
	v_fmac_f32_e32 v15, s30, v7
	v_sub_f32_e32 v6, v18, v19
	s_waitcnt vmcnt(0)
	v_mul_f32_e32 v7, s9, v17
	v_mul_f32_e32 v17, s8, v17
	v_fma_f32 v7, s8, v16, -v7
	v_fmac_f32_e32 v17, s9, v16
	v_add_f32_e32 v6, v6, v7
	v_add_f32_e32 v7, v15, v17
	global_store_dwordx2 v[8:9], v[6:7], off
.LBB38_33:
	s_or_b64 exec, exec, s[2:3]
	s_waitcnt lgkmcnt(1)
	ds_bpermute_b32 v6, v14, v12
	s_waitcnt lgkmcnt(1)
	ds_bpermute_b32 v7, v14, v0
	v_or_b32_e32 v8, 2, v4
	v_mov_b32_e32 v9, v5
	v_cmp_lt_u64_e64 s[0:1], v[8:9], v[2:3]
	s_and_b64 s[0:1], vcc, s[0:1]
	s_and_saveexec_b64 s[2:3], s[0:1]
	s_cbranch_execz .LBB38_35
; %bb.34:
	v_mad_u64_u32 v[16:17], s[0:1], v8, s16, 0
	v_mov_b32_e32 v0, v17
	v_mad_u64_u32 v[8:9], s[0:1], v8, s17, v[0:1]
	v_mov_b32_e32 v17, v8
	v_lshlrev_b64 v[8:9], 3, v[16:17]
	v_add_co_u32_e64 v8, s[0:1], v10, v8
	v_addc_co_u32_e64 v9, s[0:1], v11, v9, s[0:1]
	global_load_dwordx2 v[16:17], v[8:9], off
	s_waitcnt lgkmcnt(1)
	v_mul_f32_e32 v0, s31, v6
	s_waitcnt lgkmcnt(0)
	v_pk_mul_f32 v[18:19], s[30:31], v[6:7]
	v_fmac_f32_e32 v0, s30, v7
	v_sub_f32_e32 v6, v18, v19
	s_waitcnt vmcnt(0)
	v_mul_f32_e32 v7, s9, v17
	v_mul_f32_e32 v12, s8, v17
	v_fma_f32 v7, s8, v16, -v7
	v_fmac_f32_e32 v12, s9, v16
	v_add_f32_e32 v6, v6, v7
	v_add_f32_e32 v7, v0, v12
	global_store_dwordx2 v[8:9], v[6:7], off
.LBB38_35:
	s_or_b64 exec, exec, s[2:3]
	ds_bpermute_b32 v0, v14, v13
	ds_bpermute_b32 v1, v14, v1
	v_or_b32_e32 v4, 3, v4
	v_cmp_lt_u64_e64 s[0:1], v[4:5], v[2:3]
	s_and_b64 s[0:1], vcc, s[0:1]
	s_and_b64 exec, exec, s[0:1]
	s_cbranch_execz .LBB38_37
; %bb.36:
	v_mad_u64_u32 v[2:3], s[0:1], v4, s16, 0
	s_waitcnt lgkmcnt(3)
	v_mov_b32_e32 v6, v3
	s_waitcnt lgkmcnt(2)
	v_mad_u64_u32 v[4:5], s[0:1], v4, s17, v[6:7]
	v_mov_b32_e32 v3, v4
	v_lshlrev_b64 v[2:3], 3, v[2:3]
	v_add_co_u32_e32 v2, vcc, v10, v2
	v_addc_co_u32_e32 v3, vcc, v11, v3, vcc
	global_load_dwordx2 v[4:5], v[2:3], off
	s_waitcnt lgkmcnt(0)
	v_pk_mul_f32 v[6:7], s[30:31], v[0:1]
	v_mov_b32_e32 v6, v1
	s_mov_b32 s0, s31
	v_mov_b32_e32 v8, v7
	v_pk_mul_f32 v[6:7], s[30:31], v[6:7] op_sel_hi:[1,0]
	v_pk_fma_f32 v[8:9], s[30:31], v[0:1], v[8:9] neg_lo:[0,0,1] neg_hi:[0,0,1]
	v_pk_fma_f32 v[0:1], s[0:1], v[0:1], v[6:7]
	s_mov_b32 s2, s9
	s_waitcnt vmcnt(0)
	v_pk_mul_f32 v[6:7], s[8:9], v[4:5]
	v_mov_b32_e32 v6, v5
	v_mov_b32_e32 v10, v7
	v_pk_mul_f32 v[6:7], s[8:9], v[6:7]
	v_pk_fma_f32 v[10:11], s[8:9], v[4:5], v[10:11] neg_lo:[0,0,1] neg_hi:[0,0,1]
	v_pk_fma_f32 v[4:5], s[2:3], v[4:5], v[6:7]
	v_pk_add_f32 v[6:7], v[8:9], v[10:11]
	v_pk_add_f32 v[0:1], v[0:1], v[4:5]
	v_mov_b32_e32 v7, v0
	global_store_dwordx2 v[2:3], v[6:7], off
.LBB38_37:
	s_endpgm
	.section	.rodata,"a",@progbits
	.p2align	6, 0x0
	.amdhsa_kernel _ZN9rocsolver6v33100L16mfma_gemm_kernelI19rocblas_complex_numIfElS3_PKPS3_S6_S6_EEv18rocblas_operation_S7_T0_S8_S8_T1_T2_lS8_S8_lT3_lS8_S8_lS9_T4_lS8_S8_l
		.amdhsa_group_segment_fixed_size 20480
		.amdhsa_private_segment_fixed_size 0
		.amdhsa_kernarg_size 424
		.amdhsa_user_sgpr_count 8
		.amdhsa_user_sgpr_private_segment_buffer 1
		.amdhsa_user_sgpr_dispatch_ptr 1
		.amdhsa_user_sgpr_queue_ptr 0
		.amdhsa_user_sgpr_kernarg_segment_ptr 1
		.amdhsa_user_sgpr_dispatch_id 0
		.amdhsa_user_sgpr_flat_scratch_init 0
		.amdhsa_user_sgpr_kernarg_preload_length 0
		.amdhsa_user_sgpr_kernarg_preload_offset 0
		.amdhsa_user_sgpr_private_segment_size 0
		.amdhsa_uses_dynamic_stack 0
		.amdhsa_system_sgpr_private_segment_wavefront_offset 0
		.amdhsa_system_sgpr_workgroup_id_x 1
		.amdhsa_system_sgpr_workgroup_id_y 1
		.amdhsa_system_sgpr_workgroup_id_z 1
		.amdhsa_system_sgpr_workgroup_info 0
		.amdhsa_system_vgpr_workitem_id 2
		.amdhsa_next_free_vgpr 51
		.amdhsa_next_free_sgpr 53
		.amdhsa_accum_offset 52
		.amdhsa_reserve_vcc 1
		.amdhsa_reserve_flat_scratch 0
		.amdhsa_float_round_mode_32 0
		.amdhsa_float_round_mode_16_64 0
		.amdhsa_float_denorm_mode_32 3
		.amdhsa_float_denorm_mode_16_64 3
		.amdhsa_dx10_clamp 1
		.amdhsa_ieee_mode 1
		.amdhsa_fp16_overflow 0
		.amdhsa_tg_split 0
		.amdhsa_exception_fp_ieee_invalid_op 0
		.amdhsa_exception_fp_denorm_src 0
		.amdhsa_exception_fp_ieee_div_zero 0
		.amdhsa_exception_fp_ieee_overflow 0
		.amdhsa_exception_fp_ieee_underflow 0
		.amdhsa_exception_fp_ieee_inexact 0
		.amdhsa_exception_int_div_zero 0
	.end_amdhsa_kernel
	.section	.text._ZN9rocsolver6v33100L16mfma_gemm_kernelI19rocblas_complex_numIfElS3_PKPS3_S6_S6_EEv18rocblas_operation_S7_T0_S8_S8_T1_T2_lS8_S8_lT3_lS8_S8_lS9_T4_lS8_S8_l,"axG",@progbits,_ZN9rocsolver6v33100L16mfma_gemm_kernelI19rocblas_complex_numIfElS3_PKPS3_S6_S6_EEv18rocblas_operation_S7_T0_S8_S8_T1_T2_lS8_S8_lT3_lS8_S8_lS9_T4_lS8_S8_l,comdat
.Lfunc_end38:
	.size	_ZN9rocsolver6v33100L16mfma_gemm_kernelI19rocblas_complex_numIfElS3_PKPS3_S6_S6_EEv18rocblas_operation_S7_T0_S8_S8_T1_T2_lS8_S8_lT3_lS8_S8_lS9_T4_lS8_S8_l, .Lfunc_end38-_ZN9rocsolver6v33100L16mfma_gemm_kernelI19rocblas_complex_numIfElS3_PKPS3_S6_S6_EEv18rocblas_operation_S7_T0_S8_S8_T1_T2_lS8_S8_lT3_lS8_S8_lS9_T4_lS8_S8_l
                                        ; -- End function
	.section	.AMDGPU.csdata,"",@progbits
; Kernel info:
; codeLenInByte = 2660
; NumSgprs: 57
; NumVgprs: 51
; NumAgprs: 0
; TotalNumVgprs: 51
; ScratchSize: 0
; MemoryBound: 0
; FloatMode: 240
; IeeeMode: 1
; LDSByteSize: 20480 bytes/workgroup (compile time only)
; SGPRBlocks: 7
; VGPRBlocks: 6
; NumSGPRsForWavesPerEU: 57
; NumVGPRsForWavesPerEU: 51
; AccumOffset: 52
; Occupancy: 8
; WaveLimiterHint : 1
; COMPUTE_PGM_RSRC2:SCRATCH_EN: 0
; COMPUTE_PGM_RSRC2:USER_SGPR: 8
; COMPUTE_PGM_RSRC2:TRAP_HANDLER: 0
; COMPUTE_PGM_RSRC2:TGID_X_EN: 1
; COMPUTE_PGM_RSRC2:TGID_Y_EN: 1
; COMPUTE_PGM_RSRC2:TGID_Z_EN: 1
; COMPUTE_PGM_RSRC2:TIDIG_COMP_CNT: 2
; COMPUTE_PGM_RSRC3_GFX90A:ACCUM_OFFSET: 12
; COMPUTE_PGM_RSRC3_GFX90A:TG_SPLIT: 0
	.section	.text._ZN9rocsolver6v33100L11gemm_kernelI19rocblas_complex_numIfElPKS3_PKPS3_S8_S8_EEvT0_S9_S9_T1_bT2_lS9_S9_lbT3_lS9_S9_lSA_T4_lS9_S9_l,"axG",@progbits,_ZN9rocsolver6v33100L11gemm_kernelI19rocblas_complex_numIfElPKS3_PKPS3_S8_S8_EEvT0_S9_S9_T1_bT2_lS9_S9_lbT3_lS9_S9_lSA_T4_lS9_S9_l,comdat
	.globl	_ZN9rocsolver6v33100L11gemm_kernelI19rocblas_complex_numIfElPKS3_PKPS3_S8_S8_EEvT0_S9_S9_T1_bT2_lS9_S9_lbT3_lS9_S9_lSA_T4_lS9_S9_l ; -- Begin function _ZN9rocsolver6v33100L11gemm_kernelI19rocblas_complex_numIfElPKS3_PKPS3_S8_S8_EEvT0_S9_S9_T1_bT2_lS9_S9_lbT3_lS9_S9_lSA_T4_lS9_S9_l
	.p2align	8
	.type	_ZN9rocsolver6v33100L11gemm_kernelI19rocblas_complex_numIfElPKS3_PKPS3_S8_S8_EEvT0_S9_S9_T1_bT2_lS9_S9_lbT3_lS9_S9_lSA_T4_lS9_S9_l,@function
_ZN9rocsolver6v33100L11gemm_kernelI19rocblas_complex_numIfElPKS3_PKPS3_S8_S8_EEvT0_S9_S9_T1_bT2_lS9_S9_lbT3_lS9_S9_lSA_T4_lS9_S9_l: ; @_ZN9rocsolver6v33100L11gemm_kernelI19rocblas_complex_numIfElPKS3_PKPS3_S8_S8_EEvT0_S9_S9_T1_bT2_lS9_S9_lbT3_lS9_S9_lSA_T4_lS9_S9_l
; %bb.0:
	s_load_dword s0, s[4:5], 0xbc
	s_load_dwordx8 s[12:19], s[4:5], 0x0
	v_and_b32_e32 v4, 0x3ff, v0
	v_mov_b32_e32 v5, 0
	v_mov_b32_e32 v1, s6
	s_waitcnt lgkmcnt(0)
	s_lshr_b32 s2, s0, 16
	s_and_b32 s0, s0, 0xffff
	v_mad_u64_u32 v[2:3], s[0:1], s0, v1, v[4:5]
	v_bfe_u32 v4, v0, 10, 10
	v_mov_b32_e32 v0, s7
	v_mad_u64_u32 v[0:1], s[0:1], s2, v0, v[4:5]
	v_cmp_gt_i64_e32 vcc, s[12:13], v[2:3]
	v_cmp_gt_i64_e64 s[0:1], s[14:15], v[0:1]
	s_mov_b32 s9, 0
	s_and_b64 s[0:1], vcc, s[0:1]
	s_and_saveexec_b64 s[2:3], s[0:1]
	s_cbranch_execz .LBB39_9
; %bb.1:
	s_load_dwordx8 s[20:27], s[4:5], 0x80
	s_load_dwordx2 s[6:7], s[4:5], 0xa0
	s_load_dwordx2 s[2:3], s[18:19], 0x0
	s_lshl_b64 s[28:29], s[8:9], 3
	v_mov_b32_e32 v4, 0
	s_waitcnt lgkmcnt(0)
	s_add_u32 s8, s22, s28
	s_addc_u32 s9, s23, s29
	s_load_dwordx2 s[0:1], s[20:21], 0x0
	s_load_dwordx2 s[18:19], s[8:9], 0x0
	v_cmp_lt_i64_e64 s[8:9], s[16:17], 1
	s_and_b64 vcc, exec, s[8:9]
	s_cbranch_vccnz .LBB39_8
; %bb.2:
	s_load_dwordx8 s[36:43], s[4:5], 0x28
	s_load_dword s30, s[4:5], 0x20
	s_load_dwordx8 s[8:15], s[4:5], 0x58
	s_load_dword s31, s[4:5], 0x50
	s_waitcnt lgkmcnt(0)
	s_add_u32 s4, s36, s28
	s_addc_u32 s5, s37, s29
	s_load_dwordx2 s[20:21], s[4:5], 0x0
	s_add_u32 s4, s8, s28
	s_addc_u32 s5, s9, s29
	s_bitcmp1_b32 s30, 0
	s_load_dwordx2 s[22:23], s[4:5], 0x0
	s_cselect_b64 s[4:5], -1, 0
	s_xor_b64 s[4:5], s[4:5], -1
	s_bitcmp1_b32 s31, 0
	v_mad_u64_u32 v[4:5], s[28:29], s40, v2, 0
	s_cselect_b64 s[8:9], -1, 0
	v_mul_lo_u32 v6, s41, v2
	v_mul_lo_u32 v7, s40, v3
	s_lshl_b64 s[28:29], s[38:39], 3
	v_add3_u32 v5, v5, v7, v6
	s_waitcnt lgkmcnt(0)
	s_add_u32 s20, s20, s28
	v_lshlrev_b64 v[4:5], 3, v[4:5]
	s_addc_u32 s21, s21, s29
	v_mov_b32_e32 v6, s21
	v_add_co_u32_e32 v4, vcc, s20, v4
	v_addc_co_u32_e32 v5, vcc, v6, v5, vcc
	v_add_co_u32_e32 v6, vcc, 4, v4
	v_addc_co_u32_e32 v7, vcc, 0, v5, vcc
	s_lshl_b64 s[20:21], s[42:43], 3
	v_mul_lo_u32 v8, s15, v0
	v_mul_lo_u32 v9, s14, v1
	v_mad_u64_u32 v[4:5], s[14:15], s14, v0, 0
	s_lshl_b64 s[10:11], s[10:11], 3
	v_add3_u32 v5, v5, v9, v8
	s_add_u32 s10, s22, s10
	v_lshlrev_b64 v[4:5], 3, v[4:5]
	s_addc_u32 s11, s23, s11
	v_mov_b32_e32 v8, s11
	v_add_co_u32_e32 v4, vcc, s10, v4
	v_addc_co_u32_e32 v5, vcc, v8, v5, vcc
	v_add_co_u32_e32 v8, vcc, 4, v4
	s_lshl_b64 s[10:11], s[12:13], 3
	v_addc_co_u32_e32 v9, vcc, 0, v5, vcc
	v_mov_b32_e32 v5, 0
	v_mov_b32_e32 v12, s21
	;; [unrolled: 1-line block ×4, first 2 shown]
	s_branch .LBB39_4
.LBB39_3:                               ;   in Loop: Header=BB39_4 Depth=1
	global_load_dwordx2 v[14:15], v[8:9], off offset:-4
	v_add_co_u32_e32 v6, vcc, s20, v6
	s_add_u32 s16, s16, -1
	v_addc_co_u32_e32 v7, vcc, v7, v12, vcc
	s_addc_u32 s17, s17, -1
	v_add_co_u32_e32 v8, vcc, s10, v8
	s_cmp_eq_u64 s[16:17], 0
	v_addc_co_u32_e32 v9, vcc, v9, v13, vcc
	s_waitcnt vmcnt(0)
	v_cndmask_b32_e64 v15, v15, -v15, s[8:9]
	v_mul_f32_e32 v16, v14, v11
	v_mul_f32_e32 v11, v15, v11
	v_fmac_f32_e32 v16, v15, v10
	v_fma_f32 v10, v14, v10, -v11
	v_add_f32_e32 v5, v5, v16
	v_add_f32_e32 v4, v4, v10
	s_cbranch_scc1 .LBB39_8
.LBB39_4:                               ; =>This Inner Loop Header: Depth=1
	s_and_b64 vcc, exec, s[4:5]
	s_cbranch_vccz .LBB39_6
; %bb.5:                                ;   in Loop: Header=BB39_4 Depth=1
	global_load_dwordx2 v[10:11], v[6:7], off offset:-4
	s_cbranch_execnz .LBB39_3
	s_branch .LBB39_7
.LBB39_6:                               ;   in Loop: Header=BB39_4 Depth=1
                                        ; implicit-def: $vgpr11
.LBB39_7:                               ;   in Loop: Header=BB39_4 Depth=1
	global_load_dwordx2 v[10:11], v[6:7], off offset:-4
	s_waitcnt vmcnt(0)
	v_xor_b32_e32 v11, 0x80000000, v11
	s_branch .LBB39_3
.LBB39_8:
	s_lshl_b64 s[4:5], s[24:25], 3
	s_waitcnt lgkmcnt(0)
	s_add_u32 s8, s18, s4
	s_addc_u32 s9, s19, s5
	v_mul_lo_u32 v6, v3, s26
	v_mul_lo_u32 v7, v2, s27
	v_mad_u64_u32 v[2:3], s[4:5], v2, s26, 0
	v_add3_u32 v3, v3, v7, v6
	v_mul_lo_u32 v6, v1, s6
	v_mul_lo_u32 v7, v0, s7
	v_mad_u64_u32 v[0:1], s[4:5], v0, s6, 0
	v_lshlrev_b64 v[2:3], 3, v[2:3]
	v_add3_u32 v1, v1, v7, v6
	v_mov_b32_e32 v6, s9
	v_add_co_u32_e32 v2, vcc, s8, v2
	v_addc_co_u32_e32 v3, vcc, v6, v3, vcc
	v_lshlrev_b64 v[0:1], 3, v[0:1]
	v_add_co_u32_e32 v0, vcc, v2, v0
	v_addc_co_u32_e32 v1, vcc, v3, v1, vcc
	global_load_dwordx2 v[2:3], v[0:1], off
	v_mul_f32_e32 v6, s3, v5
	v_mul_f32_e32 v5, s2, v5
	v_fma_f32 v6, s2, v4, -v6
	v_fmac_f32_e32 v5, s3, v4
	s_waitcnt vmcnt(0)
	v_mul_f32_e32 v4, s1, v3
	v_mul_f32_e32 v3, s0, v3
	v_fma_f32 v4, s0, v2, -v4
	v_fmac_f32_e32 v3, s1, v2
	v_add_f32_e32 v2, v6, v4
	v_add_f32_e32 v3, v5, v3
	global_store_dwordx2 v[0:1], v[2:3], off
.LBB39_9:
	s_endpgm
	.section	.rodata,"a",@progbits
	.p2align	6, 0x0
	.amdhsa_kernel _ZN9rocsolver6v33100L11gemm_kernelI19rocblas_complex_numIfElPKS3_PKPS3_S8_S8_EEvT0_S9_S9_T1_bT2_lS9_S9_lbT3_lS9_S9_lSA_T4_lS9_S9_l
		.amdhsa_group_segment_fixed_size 0
		.amdhsa_private_segment_fixed_size 0
		.amdhsa_kernarg_size 432
		.amdhsa_user_sgpr_count 6
		.amdhsa_user_sgpr_private_segment_buffer 1
		.amdhsa_user_sgpr_dispatch_ptr 0
		.amdhsa_user_sgpr_queue_ptr 0
		.amdhsa_user_sgpr_kernarg_segment_ptr 1
		.amdhsa_user_sgpr_dispatch_id 0
		.amdhsa_user_sgpr_flat_scratch_init 0
		.amdhsa_user_sgpr_kernarg_preload_length 0
		.amdhsa_user_sgpr_kernarg_preload_offset 0
		.amdhsa_user_sgpr_private_segment_size 0
		.amdhsa_uses_dynamic_stack 0
		.amdhsa_system_sgpr_private_segment_wavefront_offset 0
		.amdhsa_system_sgpr_workgroup_id_x 1
		.amdhsa_system_sgpr_workgroup_id_y 1
		.amdhsa_system_sgpr_workgroup_id_z 1
		.amdhsa_system_sgpr_workgroup_info 0
		.amdhsa_system_vgpr_workitem_id 1
		.amdhsa_next_free_vgpr 17
		.amdhsa_next_free_sgpr 44
		.amdhsa_accum_offset 20
		.amdhsa_reserve_vcc 1
		.amdhsa_reserve_flat_scratch 0
		.amdhsa_float_round_mode_32 0
		.amdhsa_float_round_mode_16_64 0
		.amdhsa_float_denorm_mode_32 3
		.amdhsa_float_denorm_mode_16_64 3
		.amdhsa_dx10_clamp 1
		.amdhsa_ieee_mode 1
		.amdhsa_fp16_overflow 0
		.amdhsa_tg_split 0
		.amdhsa_exception_fp_ieee_invalid_op 0
		.amdhsa_exception_fp_denorm_src 0
		.amdhsa_exception_fp_ieee_div_zero 0
		.amdhsa_exception_fp_ieee_overflow 0
		.amdhsa_exception_fp_ieee_underflow 0
		.amdhsa_exception_fp_ieee_inexact 0
		.amdhsa_exception_int_div_zero 0
	.end_amdhsa_kernel
	.section	.text._ZN9rocsolver6v33100L11gemm_kernelI19rocblas_complex_numIfElPKS3_PKPS3_S8_S8_EEvT0_S9_S9_T1_bT2_lS9_S9_lbT3_lS9_S9_lSA_T4_lS9_S9_l,"axG",@progbits,_ZN9rocsolver6v33100L11gemm_kernelI19rocblas_complex_numIfElPKS3_PKPS3_S8_S8_EEvT0_S9_S9_T1_bT2_lS9_S9_lbT3_lS9_S9_lSA_T4_lS9_S9_l,comdat
.Lfunc_end39:
	.size	_ZN9rocsolver6v33100L11gemm_kernelI19rocblas_complex_numIfElPKS3_PKPS3_S8_S8_EEvT0_S9_S9_T1_bT2_lS9_S9_lbT3_lS9_S9_lSA_T4_lS9_S9_l, .Lfunc_end39-_ZN9rocsolver6v33100L11gemm_kernelI19rocblas_complex_numIfElPKS3_PKPS3_S8_S8_EEvT0_S9_S9_T1_bT2_lS9_S9_lbT3_lS9_S9_lSA_T4_lS9_S9_l
                                        ; -- End function
	.section	.AMDGPU.csdata,"",@progbits
; Kernel info:
; codeLenInByte = 760
; NumSgprs: 48
; NumVgprs: 17
; NumAgprs: 0
; TotalNumVgprs: 17
; ScratchSize: 0
; MemoryBound: 0
; FloatMode: 240
; IeeeMode: 1
; LDSByteSize: 0 bytes/workgroup (compile time only)
; SGPRBlocks: 5
; VGPRBlocks: 2
; NumSGPRsForWavesPerEU: 48
; NumVGPRsForWavesPerEU: 17
; AccumOffset: 20
; Occupancy: 8
; WaveLimiterHint : 1
; COMPUTE_PGM_RSRC2:SCRATCH_EN: 0
; COMPUTE_PGM_RSRC2:USER_SGPR: 6
; COMPUTE_PGM_RSRC2:TRAP_HANDLER: 0
; COMPUTE_PGM_RSRC2:TGID_X_EN: 1
; COMPUTE_PGM_RSRC2:TGID_Y_EN: 1
; COMPUTE_PGM_RSRC2:TGID_Z_EN: 1
; COMPUTE_PGM_RSRC2:TIDIG_COMP_CNT: 1
; COMPUTE_PGM_RSRC3_GFX90A:ACCUM_OFFSET: 4
; COMPUTE_PGM_RSRC3_GFX90A:TG_SPLIT: 0
	.section	.text._ZN9rocsolver6v33100L11gemm_kernelI19rocblas_complex_numIfElS3_PKPS3_S6_S6_EEvT0_S7_S7_T1_bT2_lS7_S7_lbT3_lS7_S7_lS8_T4_lS7_S7_l,"axG",@progbits,_ZN9rocsolver6v33100L11gemm_kernelI19rocblas_complex_numIfElS3_PKPS3_S6_S6_EEvT0_S7_S7_T1_bT2_lS7_S7_lbT3_lS7_S7_lS8_T4_lS7_S7_l,comdat
	.globl	_ZN9rocsolver6v33100L11gemm_kernelI19rocblas_complex_numIfElS3_PKPS3_S6_S6_EEvT0_S7_S7_T1_bT2_lS7_S7_lbT3_lS7_S7_lS8_T4_lS7_S7_l ; -- Begin function _ZN9rocsolver6v33100L11gemm_kernelI19rocblas_complex_numIfElS3_PKPS3_S6_S6_EEvT0_S7_S7_T1_bT2_lS7_S7_lbT3_lS7_S7_lS8_T4_lS7_S7_l
	.p2align	8
	.type	_ZN9rocsolver6v33100L11gemm_kernelI19rocblas_complex_numIfElS3_PKPS3_S6_S6_EEvT0_S7_S7_T1_bT2_lS7_S7_lbT3_lS7_S7_lS8_T4_lS7_S7_l,@function
_ZN9rocsolver6v33100L11gemm_kernelI19rocblas_complex_numIfElS3_PKPS3_S6_S6_EEvT0_S7_S7_T1_bT2_lS7_S7_lbT3_lS7_S7_lS8_T4_lS7_S7_l: ; @_ZN9rocsolver6v33100L11gemm_kernelI19rocblas_complex_numIfElS3_PKPS3_S6_S6_EEvT0_S7_S7_T1_bT2_lS7_S7_lbT3_lS7_S7_lS8_T4_lS7_S7_l
; %bb.0:
	s_load_dword s10, s[4:5], 0xbc
	s_load_dwordx4 s[0:3], s[4:5], 0x0
	v_and_b32_e32 v4, 0x3ff, v0
	v_mov_b32_e32 v5, 0
	v_mov_b32_e32 v1, s6
	s_waitcnt lgkmcnt(0)
	s_lshr_b32 s12, s10, 16
	s_and_b32 s10, s10, 0xffff
	v_mad_u64_u32 v[2:3], s[10:11], s10, v1, v[4:5]
	v_bfe_u32 v4, v0, 10, 10
	v_mov_b32_e32 v0, s7
	v_mad_u64_u32 v[0:1], s[6:7], s12, v0, v[4:5]
	v_cmp_gt_i64_e32 vcc, s[0:1], v[2:3]
	v_cmp_gt_i64_e64 s[0:1], s[2:3], v[0:1]
	s_mov_b32 s9, 0
	s_and_b64 s[0:1], vcc, s[0:1]
	s_and_saveexec_b64 s[2:3], s[0:1]
	s_cbranch_execz .LBB40_9
; %bb.1:
	s_load_dwordx8 s[12:19], s[4:5], 0x88
	s_load_dwordx2 s[10:11], s[4:5], 0x10
	s_load_dwordx4 s[0:3], s[4:5], 0x18
	s_load_dwordx2 s[6:7], s[4:5], 0x80
	s_lshl_b64 s[28:29], s[8:9], 3
	s_waitcnt lgkmcnt(0)
	s_add_u32 s8, s12, s28
	s_addc_u32 s9, s13, s29
	s_load_dwordx2 s[8:9], s[8:9], 0x0
	v_cmp_lt_i64_e64 s[12:13], s[10:11], 1
	s_and_b64 vcc, exec, s[12:13]
	v_mov_b32_e32 v4, 0
	s_cbranch_vccnz .LBB40_8
; %bb.2:
	s_load_dwordx8 s[36:43], s[4:5], 0x28
	s_load_dwordx8 s[20:27], s[4:5], 0x58
	s_load_dword s30, s[4:5], 0x50
	s_waitcnt lgkmcnt(0)
	s_add_u32 s4, s36, s28
	s_addc_u32 s5, s37, s29
	s_load_dwordx2 s[12:13], s[4:5], 0x0
	s_add_u32 s4, s20, s28
	s_addc_u32 s5, s21, s29
	s_bitcmp1_b32 s2, 0
	s_cselect_b64 s[2:3], -1, 0
	s_xor_b64 s[2:3], s[2:3], -1
	s_bitcmp1_b32 s30, 0
	v_mad_u64_u32 v[4:5], s[28:29], s40, v2, 0
	s_load_dwordx2 s[20:21], s[4:5], 0x0
	s_cselect_b64 s[4:5], -1, 0
	v_mul_lo_u32 v6, s41, v2
	v_mul_lo_u32 v7, s40, v3
	s_lshl_b64 s[28:29], s[38:39], 3
	v_add3_u32 v5, v5, v7, v6
	s_waitcnt lgkmcnt(0)
	s_add_u32 s12, s12, s28
	v_lshlrev_b64 v[4:5], 3, v[4:5]
	s_addc_u32 s13, s13, s29
	v_mov_b32_e32 v6, s13
	v_add_co_u32_e32 v4, vcc, s12, v4
	v_addc_co_u32_e32 v5, vcc, v6, v5, vcc
	v_add_co_u32_e32 v6, vcc, 4, v4
	v_addc_co_u32_e32 v7, vcc, 0, v5, vcc
	s_lshl_b64 s[12:13], s[42:43], 3
	v_mul_lo_u32 v8, s27, v0
	v_mul_lo_u32 v9, s26, v1
	v_mad_u64_u32 v[4:5], s[26:27], s26, v0, 0
	s_lshl_b64 s[22:23], s[22:23], 3
	v_add3_u32 v5, v5, v9, v8
	s_add_u32 s20, s20, s22
	v_lshlrev_b64 v[4:5], 3, v[4:5]
	s_addc_u32 s21, s21, s23
	v_mov_b32_e32 v8, s21
	v_add_co_u32_e32 v4, vcc, s20, v4
	v_addc_co_u32_e32 v5, vcc, v8, v5, vcc
	v_add_co_u32_e32 v8, vcc, 4, v4
	s_lshl_b64 s[20:21], s[24:25], 3
	v_addc_co_u32_e32 v9, vcc, 0, v5, vcc
	v_mov_b32_e32 v5, 0
	v_mov_b32_e32 v12, s13
	;; [unrolled: 1-line block ×4, first 2 shown]
	s_branch .LBB40_4
.LBB40_3:                               ;   in Loop: Header=BB40_4 Depth=1
	global_load_dwordx2 v[14:15], v[8:9], off offset:-4
	v_add_co_u32_e32 v6, vcc, s12, v6
	s_add_u32 s10, s10, -1
	v_addc_co_u32_e32 v7, vcc, v7, v12, vcc
	s_addc_u32 s11, s11, -1
	v_add_co_u32_e32 v8, vcc, s20, v8
	s_cmp_eq_u64 s[10:11], 0
	v_addc_co_u32_e32 v9, vcc, v9, v13, vcc
	s_waitcnt vmcnt(0)
	v_cndmask_b32_e64 v15, v15, -v15, s[4:5]
	v_mul_f32_e32 v16, v14, v11
	v_mul_f32_e32 v11, v15, v11
	v_fmac_f32_e32 v16, v15, v10
	v_fma_f32 v10, v14, v10, -v11
	v_add_f32_e32 v5, v5, v16
	v_add_f32_e32 v4, v4, v10
	s_cbranch_scc1 .LBB40_8
.LBB40_4:                               ; =>This Inner Loop Header: Depth=1
	s_and_b64 vcc, exec, s[2:3]
	s_cbranch_vccz .LBB40_6
; %bb.5:                                ;   in Loop: Header=BB40_4 Depth=1
	global_load_dwordx2 v[10:11], v[6:7], off offset:-4
	s_cbranch_execnz .LBB40_3
	s_branch .LBB40_7
.LBB40_6:                               ;   in Loop: Header=BB40_4 Depth=1
                                        ; implicit-def: $vgpr11
.LBB40_7:                               ;   in Loop: Header=BB40_4 Depth=1
	global_load_dwordx2 v[10:11], v[6:7], off offset:-4
	s_waitcnt vmcnt(0)
	v_xor_b32_e32 v11, 0x80000000, v11
	s_branch .LBB40_3
.LBB40_8:
	s_lshl_b64 s[2:3], s[14:15], 3
	s_waitcnt lgkmcnt(0)
	s_add_u32 s4, s8, s2
	s_addc_u32 s5, s9, s3
	v_mul_lo_u32 v6, v3, s16
	v_mul_lo_u32 v7, v2, s17
	v_mad_u64_u32 v[2:3], s[2:3], v2, s16, 0
	v_add3_u32 v3, v3, v7, v6
	v_mul_lo_u32 v6, v1, s18
	v_mul_lo_u32 v7, v0, s19
	v_mad_u64_u32 v[0:1], s[2:3], v0, s18, 0
	v_lshlrev_b64 v[2:3], 3, v[2:3]
	v_add3_u32 v1, v1, v7, v6
	v_mov_b32_e32 v6, s5
	v_add_co_u32_e32 v2, vcc, s4, v2
	v_addc_co_u32_e32 v3, vcc, v6, v3, vcc
	v_lshlrev_b64 v[0:1], 3, v[0:1]
	v_add_co_u32_e32 v0, vcc, v2, v0
	v_addc_co_u32_e32 v1, vcc, v3, v1, vcc
	global_load_dwordx2 v[2:3], v[0:1], off
	v_mul_f32_e32 v6, s1, v5
	v_mul_f32_e32 v5, s0, v5
	v_fma_f32 v6, s0, v4, -v6
	v_fmac_f32_e32 v5, s1, v4
	s_waitcnt vmcnt(0)
	v_mul_f32_e32 v4, s7, v3
	v_mul_f32_e32 v3, s6, v3
	v_fma_f32 v4, s6, v2, -v4
	v_fmac_f32_e32 v3, s7, v2
	v_add_f32_e32 v2, v6, v4
	v_add_f32_e32 v3, v5, v3
	global_store_dwordx2 v[0:1], v[2:3], off
.LBB40_9:
	s_endpgm
	.section	.rodata,"a",@progbits
	.p2align	6, 0x0
	.amdhsa_kernel _ZN9rocsolver6v33100L11gemm_kernelI19rocblas_complex_numIfElS3_PKPS3_S6_S6_EEvT0_S7_S7_T1_bT2_lS7_S7_lbT3_lS7_S7_lS8_T4_lS7_S7_l
		.amdhsa_group_segment_fixed_size 0
		.amdhsa_private_segment_fixed_size 0
		.amdhsa_kernarg_size 432
		.amdhsa_user_sgpr_count 6
		.amdhsa_user_sgpr_private_segment_buffer 1
		.amdhsa_user_sgpr_dispatch_ptr 0
		.amdhsa_user_sgpr_queue_ptr 0
		.amdhsa_user_sgpr_kernarg_segment_ptr 1
		.amdhsa_user_sgpr_dispatch_id 0
		.amdhsa_user_sgpr_flat_scratch_init 0
		.amdhsa_user_sgpr_kernarg_preload_length 0
		.amdhsa_user_sgpr_kernarg_preload_offset 0
		.amdhsa_user_sgpr_private_segment_size 0
		.amdhsa_uses_dynamic_stack 0
		.amdhsa_system_sgpr_private_segment_wavefront_offset 0
		.amdhsa_system_sgpr_workgroup_id_x 1
		.amdhsa_system_sgpr_workgroup_id_y 1
		.amdhsa_system_sgpr_workgroup_id_z 1
		.amdhsa_system_sgpr_workgroup_info 0
		.amdhsa_system_vgpr_workitem_id 1
		.amdhsa_next_free_vgpr 17
		.amdhsa_next_free_sgpr 44
		.amdhsa_accum_offset 20
		.amdhsa_reserve_vcc 1
		.amdhsa_reserve_flat_scratch 0
		.amdhsa_float_round_mode_32 0
		.amdhsa_float_round_mode_16_64 0
		.amdhsa_float_denorm_mode_32 3
		.amdhsa_float_denorm_mode_16_64 3
		.amdhsa_dx10_clamp 1
		.amdhsa_ieee_mode 1
		.amdhsa_fp16_overflow 0
		.amdhsa_tg_split 0
		.amdhsa_exception_fp_ieee_invalid_op 0
		.amdhsa_exception_fp_denorm_src 0
		.amdhsa_exception_fp_ieee_div_zero 0
		.amdhsa_exception_fp_ieee_overflow 0
		.amdhsa_exception_fp_ieee_underflow 0
		.amdhsa_exception_fp_ieee_inexact 0
		.amdhsa_exception_int_div_zero 0
	.end_amdhsa_kernel
	.section	.text._ZN9rocsolver6v33100L11gemm_kernelI19rocblas_complex_numIfElS3_PKPS3_S6_S6_EEvT0_S7_S7_T1_bT2_lS7_S7_lbT3_lS7_S7_lS8_T4_lS7_S7_l,"axG",@progbits,_ZN9rocsolver6v33100L11gemm_kernelI19rocblas_complex_numIfElS3_PKPS3_S6_S6_EEvT0_S7_S7_T1_bT2_lS7_S7_lbT3_lS7_S7_lS8_T4_lS7_S7_l,comdat
.Lfunc_end40:
	.size	_ZN9rocsolver6v33100L11gemm_kernelI19rocblas_complex_numIfElS3_PKPS3_S6_S6_EEvT0_S7_S7_T1_bT2_lS7_S7_lbT3_lS7_S7_lS8_T4_lS7_S7_l, .Lfunc_end40-_ZN9rocsolver6v33100L11gemm_kernelI19rocblas_complex_numIfElS3_PKPS3_S6_S6_EEvT0_S7_S7_T1_bT2_lS7_S7_lbT3_lS7_S7_lS8_T4_lS7_S7_l
                                        ; -- End function
	.section	.AMDGPU.csdata,"",@progbits
; Kernel info:
; codeLenInByte = 752
; NumSgprs: 48
; NumVgprs: 17
; NumAgprs: 0
; TotalNumVgprs: 17
; ScratchSize: 0
; MemoryBound: 0
; FloatMode: 240
; IeeeMode: 1
; LDSByteSize: 0 bytes/workgroup (compile time only)
; SGPRBlocks: 5
; VGPRBlocks: 2
; NumSGPRsForWavesPerEU: 48
; NumVGPRsForWavesPerEU: 17
; AccumOffset: 20
; Occupancy: 8
; WaveLimiterHint : 1
; COMPUTE_PGM_RSRC2:SCRATCH_EN: 0
; COMPUTE_PGM_RSRC2:USER_SGPR: 6
; COMPUTE_PGM_RSRC2:TRAP_HANDLER: 0
; COMPUTE_PGM_RSRC2:TGID_X_EN: 1
; COMPUTE_PGM_RSRC2:TGID_Y_EN: 1
; COMPUTE_PGM_RSRC2:TGID_Z_EN: 1
; COMPUTE_PGM_RSRC2:TIDIG_COMP_CNT: 1
; COMPUTE_PGM_RSRC3_GFX90A:ACCUM_OFFSET: 4
; COMPUTE_PGM_RSRC3_GFX90A:TG_SPLIT: 0
	.section	.text._ZN9rocsolver6v33100L9get_arrayI19rocblas_complex_numIfElEEvPPT_S5_lT0_,"axG",@progbits,_ZN9rocsolver6v33100L9get_arrayI19rocblas_complex_numIfElEEvPPT_S5_lT0_,comdat
	.globl	_ZN9rocsolver6v33100L9get_arrayI19rocblas_complex_numIfElEEvPPT_S5_lT0_ ; -- Begin function _ZN9rocsolver6v33100L9get_arrayI19rocblas_complex_numIfElEEvPPT_S5_lT0_
	.p2align	8
	.type	_ZN9rocsolver6v33100L9get_arrayI19rocblas_complex_numIfElEEvPPT_S5_lT0_,@function
_ZN9rocsolver6v33100L9get_arrayI19rocblas_complex_numIfElEEvPPT_S5_lT0_: ; @_ZN9rocsolver6v33100L9get_arrayI19rocblas_complex_numIfElEEvPPT_S5_lT0_
; %bb.0:
	s_load_dword s0, s[4:5], 0x2c
	s_load_dwordx8 s[8:15], s[4:5], 0x0
	v_mov_b32_e32 v1, 0
	v_mov_b32_e32 v2, s6
	s_waitcnt lgkmcnt(0)
	s_and_b32 s0, s0, 0xffff
	v_mad_u64_u32 v[0:1], s[0:1], s0, v2, v[0:1]
	v_cmp_gt_i64_e32 vcc, s[14:15], v[0:1]
	s_and_saveexec_b64 s[0:1], vcc
	s_cbranch_execz .LBB41_2
; %bb.1:
	v_mul_lo_u32 v4, v1, s12
	v_mul_lo_u32 v5, v0, s13
	v_mad_u64_u32 v[2:3], s[0:1], v0, s12, 0
	v_add3_u32 v3, v3, v5, v4
	v_lshlrev_b64 v[2:3], 3, v[2:3]
	v_mov_b32_e32 v4, s11
	v_add_co_u32_e32 v2, vcc, s10, v2
	v_addc_co_u32_e32 v3, vcc, v4, v3, vcc
	v_lshlrev_b64 v[0:1], 3, v[0:1]
	v_mov_b32_e32 v4, s9
	v_add_co_u32_e32 v0, vcc, s8, v0
	v_addc_co_u32_e32 v1, vcc, v4, v1, vcc
	global_store_dwordx2 v[0:1], v[2:3], off
.LBB41_2:
	s_endpgm
	.section	.rodata,"a",@progbits
	.p2align	6, 0x0
	.amdhsa_kernel _ZN9rocsolver6v33100L9get_arrayI19rocblas_complex_numIfElEEvPPT_S5_lT0_
		.amdhsa_group_segment_fixed_size 0
		.amdhsa_private_segment_fixed_size 0
		.amdhsa_kernarg_size 288
		.amdhsa_user_sgpr_count 6
		.amdhsa_user_sgpr_private_segment_buffer 1
		.amdhsa_user_sgpr_dispatch_ptr 0
		.amdhsa_user_sgpr_queue_ptr 0
		.amdhsa_user_sgpr_kernarg_segment_ptr 1
		.amdhsa_user_sgpr_dispatch_id 0
		.amdhsa_user_sgpr_flat_scratch_init 0
		.amdhsa_user_sgpr_kernarg_preload_length 0
		.amdhsa_user_sgpr_kernarg_preload_offset 0
		.amdhsa_user_sgpr_private_segment_size 0
		.amdhsa_uses_dynamic_stack 0
		.amdhsa_system_sgpr_private_segment_wavefront_offset 0
		.amdhsa_system_sgpr_workgroup_id_x 1
		.amdhsa_system_sgpr_workgroup_id_y 0
		.amdhsa_system_sgpr_workgroup_id_z 0
		.amdhsa_system_sgpr_workgroup_info 0
		.amdhsa_system_vgpr_workitem_id 0
		.amdhsa_next_free_vgpr 6
		.amdhsa_next_free_sgpr 16
		.amdhsa_accum_offset 8
		.amdhsa_reserve_vcc 1
		.amdhsa_reserve_flat_scratch 0
		.amdhsa_float_round_mode_32 0
		.amdhsa_float_round_mode_16_64 0
		.amdhsa_float_denorm_mode_32 3
		.amdhsa_float_denorm_mode_16_64 3
		.amdhsa_dx10_clamp 1
		.amdhsa_ieee_mode 1
		.amdhsa_fp16_overflow 0
		.amdhsa_tg_split 0
		.amdhsa_exception_fp_ieee_invalid_op 0
		.amdhsa_exception_fp_denorm_src 0
		.amdhsa_exception_fp_ieee_div_zero 0
		.amdhsa_exception_fp_ieee_overflow 0
		.amdhsa_exception_fp_ieee_underflow 0
		.amdhsa_exception_fp_ieee_inexact 0
		.amdhsa_exception_int_div_zero 0
	.end_amdhsa_kernel
	.section	.text._ZN9rocsolver6v33100L9get_arrayI19rocblas_complex_numIfElEEvPPT_S5_lT0_,"axG",@progbits,_ZN9rocsolver6v33100L9get_arrayI19rocblas_complex_numIfElEEvPPT_S5_lT0_,comdat
.Lfunc_end41:
	.size	_ZN9rocsolver6v33100L9get_arrayI19rocblas_complex_numIfElEEvPPT_S5_lT0_, .Lfunc_end41-_ZN9rocsolver6v33100L9get_arrayI19rocblas_complex_numIfElEEvPPT_S5_lT0_
                                        ; -- End function
	.section	.AMDGPU.csdata,"",@progbits
; Kernel info:
; codeLenInByte = 140
; NumSgprs: 20
; NumVgprs: 6
; NumAgprs: 0
; TotalNumVgprs: 6
; ScratchSize: 0
; MemoryBound: 0
; FloatMode: 240
; IeeeMode: 1
; LDSByteSize: 0 bytes/workgroup (compile time only)
; SGPRBlocks: 2
; VGPRBlocks: 0
; NumSGPRsForWavesPerEU: 20
; NumVGPRsForWavesPerEU: 6
; AccumOffset: 8
; Occupancy: 8
; WaveLimiterHint : 0
; COMPUTE_PGM_RSRC2:SCRATCH_EN: 0
; COMPUTE_PGM_RSRC2:USER_SGPR: 6
; COMPUTE_PGM_RSRC2:TRAP_HANDLER: 0
; COMPUTE_PGM_RSRC2:TGID_X_EN: 1
; COMPUTE_PGM_RSRC2:TGID_Y_EN: 0
; COMPUTE_PGM_RSRC2:TGID_Z_EN: 0
; COMPUTE_PGM_RSRC2:TIDIG_COMP_CNT: 0
; COMPUTE_PGM_RSRC3_GFX90A:ACCUM_OFFSET: 1
; COMPUTE_PGM_RSRC3_GFX90A:TG_SPLIT: 0
	.section	.text._ZN9rocsolver6v33100L16mfma_gemm_kernelI19rocblas_complex_numIfElPKS3_PS3_PKS6_S8_EEv18rocblas_operation_S9_T0_SA_SA_T1_T2_lSA_SA_lT3_lSA_SA_lSB_T4_lSA_SA_l,"axG",@progbits,_ZN9rocsolver6v33100L16mfma_gemm_kernelI19rocblas_complex_numIfElPKS3_PS3_PKS6_S8_EEv18rocblas_operation_S9_T0_SA_SA_T1_T2_lSA_SA_lT3_lSA_SA_lSB_T4_lSA_SA_l,comdat
	.globl	_ZN9rocsolver6v33100L16mfma_gemm_kernelI19rocblas_complex_numIfElPKS3_PS3_PKS6_S8_EEv18rocblas_operation_S9_T0_SA_SA_T1_T2_lSA_SA_lT3_lSA_SA_lSB_T4_lSA_SA_l ; -- Begin function _ZN9rocsolver6v33100L16mfma_gemm_kernelI19rocblas_complex_numIfElPKS3_PS3_PKS6_S8_EEv18rocblas_operation_S9_T0_SA_SA_T1_T2_lSA_SA_lT3_lSA_SA_lSB_T4_lSA_SA_l
	.p2align	8
	.type	_ZN9rocsolver6v33100L16mfma_gemm_kernelI19rocblas_complex_numIfElPKS3_PS3_PKS6_S8_EEv18rocblas_operation_S9_T0_SA_SA_T1_T2_lSA_SA_lT3_lSA_SA_lSB_T4_lSA_SA_l,@function
_ZN9rocsolver6v33100L16mfma_gemm_kernelI19rocblas_complex_numIfElPKS3_PS3_PKS6_S8_EEv18rocblas_operation_S9_T0_SA_SA_T1_T2_lSA_SA_lT3_lSA_SA_lSB_T4_lSA_SA_l: ; @_ZN9rocsolver6v33100L16mfma_gemm_kernelI19rocblas_complex_numIfElPKS3_PS3_PKS6_S8_EEv18rocblas_operation_S9_T0_SA_SA_T1_T2_lSA_SA_lT3_lSA_SA_lSB_T4_lSA_SA_l
; %bb.0:
	s_load_dword s0, s[6:7], 0xb4
	s_load_dwordx16 s[12:27], s[6:7], 0x8
	v_and_b32_e32 v1, 0x3ff, v0
	v_lshrrev_b32_e32 v2, 6, v1
	v_mov_b32_e32 v3, 0
	s_waitcnt lgkmcnt(0)
	s_lshr_b32 s2, s0, 16
	s_bfe_u32 s0, s0, 0xa0006
	v_mov_b32_e32 v4, s8
	v_bfe_u32 v8, v0, 10, 10
	v_mov_b32_e32 v9, v3
	v_mad_u64_u32 v[16:17], s[0:1], s0, v4, v[2:3]
	v_mov_b32_e32 v2, s9
	v_mad_u64_u32 v[20:21], s[0:1], s2, v2, v[8:9]
	v_lshlrev_b64 v[4:5], 4, v[16:17]
	v_lshlrev_b64 v[6:7], 4, v[20:21]
	v_cmp_gt_i64_e32 vcc, s[12:13], v[4:5]
	v_cmp_gt_i64_e64 s[0:1], s[14:15], v[6:7]
	s_mov_b32 s11, 0
	s_and_b64 s[0:1], vcc, s[0:1]
	s_and_saveexec_b64 s[2:3], s[0:1]
	s_cbranch_execz .LBB42_37
; %bb.1:
	s_load_dwordx2 s[0:1], s[4:5], 0x4
	s_load_dwordx8 s[36:43], s[6:7], 0x78
	s_load_dwordx2 s[28:29], s[6:7], 0x98
	v_bfe_u32 v0, v0, 20, 10
	s_lshl_b64 s[2:3], s[10:11], 3
	s_waitcnt lgkmcnt(0)
	s_lshr_b32 s0, s0, 16
	s_mul_i32 s0, s0, s1
	v_mul_u32_u24_e32 v2, s1, v8
	v_mul_lo_u32 v8, s0, v1
	v_add3_u32 v0, v8, v2, v0
	v_add_co_u32_e32 v8, vcc, 16, v4
	v_addc_co_u32_e32 v9, vcc, 0, v5, vcc
	s_and_b32 s0, s12, 15
	v_mul_lo_u32 v30, v0, 20
	v_mov_b32_e32 v0, s0
	v_cmp_lt_u64_e32 vcc, s[12:13], v[8:9]
	s_and_b32 s0, s14, 15
	v_cndmask_b32_e32 v2, 16, v0, vcc
	v_add_co_u32_e32 v8, vcc, 16, v6
	v_mov_b32_e32 v0, s0
	s_add_u32 s0, s38, s2
	v_addc_co_u32_e32 v9, vcc, 0, v7, vcc
	s_addc_u32 s1, s39, s3
	v_cmp_lt_u64_e32 vcc, s[14:15], v[8:9]
	s_load_dwordx2 s[12:13], s[18:19], 0x0
	s_load_dwordx2 s[8:9], s[36:37], 0x0
	;; [unrolled: 1-line block ×3, first 2 shown]
	v_cndmask_b32_e32 v8, 16, v0, vcc
	v_mov_b32_e32 v9, v3
	v_bfe_u32 v10, v1, 2, 4
	v_mov_b32_e32 v11, v3
	v_cmp_lt_i64_e64 s[0:1], s[16:17], 1
	v_and_b32_e32 v15, 63, v1
	v_and_b32_e32 v28, 3, v1
	s_and_b64 vcc, exec, s[0:1]
	v_cmp_lt_u64_e64 s[0:1], v[10:11], v[8:9]
	v_mbcnt_lo_u32_b32 v29, -1, 0
	v_mov_b32_e32 v13, v3
	v_mov_b32_e32 v0, v3
	;; [unrolled: 1-line block ×8, first 2 shown]
	ds_write2_b32 v30, v3, v3 offset0:2 offset1:3
	ds_write2_b32 v30, v3, v3 offset1:1
	ds_write_b32 v30, v3 offset:16
	s_cbranch_vccnz .LBB42_29
; %bb.2:
	s_load_dwordx8 s[44:51], s[6:7], 0x48
	s_load_dwordx2 s[36:37], s[6:7], 0x0
	s_load_dwordx2 s[38:39], s[6:7], 0x68
	v_lshrrev_b32_e32 v14, 4, v15
	v_and_b32_e32 v0, 15, v15
	s_waitcnt lgkmcnt(0)
	s_add_u32 s2, s46, s2
	s_addc_u32 s3, s47, s3
	s_cmpk_lg_i32 s36, 0x6f
	s_cselect_b64 s[18:19], -1, 0
	s_cmpk_lg_i32 s37, 0x6f
	s_cselect_b64 s[30:31], -1, 0
	s_cmpk_eq_i32 s37, 0x6f
	s_cselect_b32 s33, s38, s50
	s_cselect_b32 s54, s39, s51
	s_cmpk_eq_i32 s36, 0x6f
	s_cselect_b32 s11, s24, s26
	s_cselect_b32 s52, s25, s27
	v_mul_lo_u32 v18, s52, v16
	v_mul_lo_u32 v17, s11, v17
	v_mad_u64_u32 v[12:13], s[52:53], s11, v16, 0
	v_add3_u32 v13, v13, v17, v18
	v_mad_u64_u32 v[16:17], s[52:53], s26, v14, 0
	v_mov_b32_e32 v18, v17
	v_mad_u64_u32 v[18:19], s[52:53], s27, v14, v[18:19]
	s_cmpk_eq_i32 s36, 0x71
	v_mov_b32_e32 v17, v18
	s_cselect_b64 s[34:35], -1, 0
	s_cmpk_eq_i32 s37, 0x71
	v_lshlrev_b64 v[12:13], 7, v[12:13]
	v_lshlrev_b64 v[16:17], 3, v[16:17]
	s_mul_i32 s11, s45, s10
	s_mul_hi_u32 s45, s44, s10
	s_cselect_b64 s[36:37], -1, 0
	v_add_co_u32_e32 v16, vcc, v12, v16
	s_add_i32 s11, s45, s11
	s_mul_i32 s10, s44, s10
	v_addc_co_u32_e32 v17, vcc, v13, v17, vcc
	s_lshl_b64 s[44:45], s[10:11], 3
	v_mov_b32_e32 v24, s45
	v_add_co_u32_e32 v22, vcc, s44, v16
	v_addc_co_u32_e32 v23, vcc, v17, v24, vcc
	v_mad_u64_u32 v[16:17], s[10:11], s24, v0, 0
	v_mov_b32_e32 v18, v17
	v_mad_u64_u32 v[18:19], s[10:11], s25, v0, v[18:19]
	v_mov_b32_e32 v17, v18
	v_lshlrev_b64 v[16:17], 3, v[16:17]
	s_lshl_b64 s[10:11], s[22:23], 3
	v_add_co_u32_e32 v16, vcc, v22, v16
	s_add_u32 s22, s20, s10
	v_addc_co_u32_e32 v17, vcc, v23, v17, vcc
	s_addc_u32 s23, s21, s11
	v_mov_b32_e32 v18, s23
	v_add_co_u32_e32 v16, vcc, s22, v16
	v_addc_co_u32_e32 v17, vcc, v18, v17, vcc
	v_mad_u64_u32 v[18:19], s[20:21], s26, v10, 0
	v_mov_b32_e32 v22, v19
	v_mad_u64_u32 v[22:23], s[20:21], s27, v10, v[22:23]
	v_mov_b32_e32 v19, v22
	v_lshlrev_b64 v[18:19], 3, v[18:19]
	v_add_co_u32_e32 v12, vcc, v12, v18
	v_addc_co_u32_e32 v13, vcc, v13, v19, vcc
	v_add_co_u32_e32 v22, vcc, s44, v12
	v_addc_co_u32_e32 v23, vcc, v13, v24, vcc
	v_mad_u64_u32 v[12:13], s[20:21], s24, v28, 0
	v_mov_b32_e32 v18, v13
	v_mad_u64_u32 v[18:19], s[20:21], s25, v28, v[18:19]
	v_mov_b32_e32 v13, v18
	v_lshlrev_b64 v[12:13], 3, v[12:13]
	v_add_co_u32_e32 v12, vcc, v22, v12
	v_addc_co_u32_e32 v13, vcc, v23, v13, vcc
	v_mov_b32_e32 v19, s23
	v_add_co_u32_e32 v18, vcc, s22, v12
	v_addc_co_u32_e32 v19, vcc, v19, v13, vcc
	v_mul_lo_u32 v22, s54, v20
	v_mul_lo_u32 v21, s33, v21
	v_mad_u64_u32 v[12:13], s[22:23], s33, v20, 0
	v_add3_u32 v13, v13, v21, v22
	v_mad_u64_u32 v[20:21], s[22:23], s38, v10, 0
	v_mov_b32_e32 v22, v21
	v_mad_u64_u32 v[22:23], s[22:23], s39, v10, v[22:23]
	v_mov_b32_e32 v21, v22
	v_lshlrev_b64 v[12:13], 7, v[12:13]
	v_lshlrev_b64 v[20:21], 3, v[20:21]
	v_add_co_u32_e32 v24, vcc, v12, v20
	s_load_dwordx2 s[46:47], s[2:3], 0x0
	v_addc_co_u32_e32 v25, vcc, v13, v21, vcc
	v_mad_u64_u32 v[20:21], s[22:23], s50, v28, 0
	v_mov_b32_e32 v22, v21
	v_mad_u64_u32 v[22:23], s[22:23], s51, v28, v[22:23]
	v_mov_b32_e32 v21, v22
	s_lshl_b64 s[10:11], s[26:27], 5
	s_lshl_b64 s[20:21], s[24:25], 5
	v_lshlrev_b64 v[20:21], 3, v[20:21]
	s_lshl_b64 s[22:23], s[48:49], 3
	v_add_co_u32_e32 v20, vcc, v24, v20
	s_waitcnt lgkmcnt(0)
	s_add_u32 s26, s46, s22
	v_addc_co_u32_e32 v21, vcc, v25, v21, vcc
	s_addc_u32 s27, s47, s23
	v_mov_b32_e32 v22, s27
	v_add_co_u32_e32 v20, vcc, s26, v20
	v_addc_co_u32_e32 v21, vcc, v22, v21, vcc
	v_mad_u64_u32 v[22:23], s[24:25], s38, v14, 0
	v_mov_b32_e32 v24, v23
	v_mad_u64_u32 v[24:25], s[24:25], s39, v14, v[24:25]
	v_mov_b32_e32 v23, v24
	v_lshlrev_b64 v[22:23], 3, v[22:23]
	v_add_co_u32_e32 v24, vcc, v12, v22
	v_addc_co_u32_e32 v25, vcc, v13, v23, vcc
	v_mad_u64_u32 v[12:13], s[24:25], s50, v0, 0
	v_mov_b32_e32 v22, v13
	v_mad_u64_u32 v[22:23], s[24:25], s51, v0, v[22:23]
	v_mov_b32_e32 v13, v22
	v_mov_b32_e32 v1, 0
	v_lshlrev_b64 v[12:13], 3, v[12:13]
	v_lshl_or_b32 v26, v0, 2, v14
	v_cmp_lt_u64_e64 s[4:5], v[0:1], v[2:3]
	v_cmp_lt_u64_e64 s[6:7], v[0:1], v[8:9]
	v_add_co_u32_e32 v0, vcc, v24, v12
	v_addc_co_u32_e32 v12, vcc, v25, v13, vcc
	v_add_co_u32_e32 v22, vcc, s26, v0
	v_mbcnt_hi_u32_b32 v0, -1, v29
	v_mov_b32_e32 v13, s27
	v_and_or_b32 v0, v0, 64, v26
	v_cmp_lt_u64_e64 s[2:3], v[10:11], v[2:3]
	s_lshl_b64 s[22:23], s[50:51], 5
	v_addc_co_u32_e32 v23, vcc, v13, v12, vcc
	s_lshl_b64 s[24:25], s[38:39], 5
	s_mov_b64 s[26:27], 0
	v_lshlrev_b32_e32 v31, 2, v0
	v_mov_b32_e32 v12, v1
	v_mov_b32_e32 v0, v1
	;; [unrolled: 1-line block ×3, first 2 shown]
	s_branch .LBB42_6
.LBB42_3:                               ;   in Loop: Header=BB42_6 Depth=1
	s_or_b64 exec, exec, s[44:45]
.LBB42_4:                               ;   in Loop: Header=BB42_6 Depth=1
	s_or_b64 exec, exec, s[38:39]
	s_waitcnt vmcnt(0)
	ds_bpermute_b32 v26, v31, v26
	ds_bpermute_b32 v27, v31, v27
.LBB42_5:                               ;   in Loop: Header=BB42_6 Depth=1
	s_waitcnt vmcnt(0) lgkmcnt(0)
	v_cndmask_b32_e64 v50, v25, -v25, s[34:35]
	v_cndmask_b32_e64 v27, v27, -v27, s[36:37]
	v_mfma_f32_16x16x4f32 v[32:35], v24, v26, 0
	v_add_co_u32_e32 v16, vcc, s10, v16
	s_add_u32 s26, s26, 4
	s_addc_u32 s27, s27, 0
	v_mfma_f32_16x16x4f32 v[40:43], v50, v27, 0
	v_mfma_f32_16x16x4f32 v[36:39], v24, v27, 0
	ds_read2_b32 v[24:25], v30 offset1:1
	ds_read2_b32 v[44:45], v30 offset0:3 offset1:4
	ds_read2_b32 v[46:47], v30 offset0:2 offset1:3
	;; [unrolled: 1-line block ×3, first 2 shown]
	s_nop 5
	v_sub_f32_e32 v35, v35, v43
	v_sub_f32_e32 v34, v34, v42
	v_sub_f32_e32 v33, v33, v41
	v_sub_f32_e32 v32, v32, v40
	s_waitcnt lgkmcnt(1)
	v_mov_b32_e32 v25, v46
	v_pk_add_f32 v[24:25], v[24:25], v[32:33]
	v_pk_add_f32 v[12:13], v[12:13], v[34:35]
	v_mfma_f32_16x16x4f32 v[32:35], v50, v26, 0
	s_waitcnt lgkmcnt(0)
	v_mov_b32_e32 v49, v44
	s_nop 7
	s_nop 0
	v_pk_add_f32 v[26:27], v[38:39], v[34:35]
	v_pk_add_f32 v[32:33], v[36:37], v[32:33]
	;; [unrolled: 1-line block ×4, first 2 shown]
	ds_write2_b32 v30, v24, v26 offset1:1
	ds_write2_b32 v30, v25, v27 offset0:2 offset1:3
	ds_write_b32 v30, v12 offset:16
	v_mov_b32_e32 v24, s11
	v_addc_co_u32_e32 v17, vcc, v17, v24, vcc
	v_mov_b32_e32 v24, s21
	v_add_co_u32_e32 v18, vcc, s20, v18
	v_addc_co_u32_e32 v19, vcc, v19, v24, vcc
	v_mov_b32_e32 v24, s23
	v_add_co_u32_e32 v20, vcc, s22, v20
	;; [unrolled: 3-line block ×3, first 2 shown]
	v_addc_co_u32_e32 v23, vcc, v23, v24, vcc
	v_pk_mov_b32 v[32:33], s[16:17], s[16:17] op_sel:[0,1]
	v_cmp_ge_i64_e32 vcc, s[26:27], v[32:33]
	s_cbranch_vccnz .LBB42_28
.LBB42_6:                               ; =>This Inner Loop Header: Depth=1
	s_and_b64 vcc, exec, s[18:19]
	s_cbranch_vccz .LBB42_18
; %bb.7:                                ;   in Loop: Header=BB42_6 Depth=1
	v_mov_b32_e32 v24, 0
	v_mov_b32_e32 v25, 0
	s_and_saveexec_b64 s[38:39], s[2:3]
	s_cbranch_execz .LBB42_11
; %bb.8:                                ;   in Loop: Header=BB42_6 Depth=1
	v_mov_b32_e32 v25, s27
	v_add_co_u32_e32 v24, vcc, s26, v28
	v_addc_co_u32_e32 v25, vcc, 0, v25, vcc
	v_cmp_gt_i64_e32 vcc, s[16:17], v[24:25]
	v_mov_b32_e32 v25, 0
	v_mov_b32_e32 v24, 0
	s_and_saveexec_b64 s[44:45], vcc
	s_cbranch_execz .LBB42_10
; %bb.9:                                ;   in Loop: Header=BB42_6 Depth=1
	global_load_dwordx2 v[24:25], v[18:19], off
.LBB42_10:                              ;   in Loop: Header=BB42_6 Depth=1
	s_or_b64 exec, exec, s[44:45]
.LBB42_11:                              ;   in Loop: Header=BB42_6 Depth=1
	s_or_b64 exec, exec, s[38:39]
	s_waitcnt vmcnt(0)
	ds_bpermute_b32 v24, v31, v24
	ds_bpermute_b32 v25, v31, v25
.LBB42_12:                              ;   in Loop: Header=BB42_6 Depth=1
	s_and_b64 vcc, exec, s[30:31]
	s_cbranch_vccz .LBB42_24
.LBB42_13:                              ;   in Loop: Header=BB42_6 Depth=1
	v_mov_b32_e32 v27, 0
	v_mov_b32_e32 v26, 0
	s_and_saveexec_b64 s[38:39], s[6:7]
	s_cbranch_execz .LBB42_17
; %bb.14:                               ;   in Loop: Header=BB42_6 Depth=1
	v_mov_b32_e32 v27, s27
	v_add_co_u32_e32 v26, vcc, s26, v14
	v_addc_co_u32_e32 v27, vcc, 0, v27, vcc
	v_cmp_gt_i64_e32 vcc, s[16:17], v[26:27]
	v_mov_b32_e32 v27, 0
	v_mov_b32_e32 v26, 0
	s_and_saveexec_b64 s[44:45], vcc
	s_cbranch_execz .LBB42_16
; %bb.15:                               ;   in Loop: Header=BB42_6 Depth=1
	global_load_dwordx2 v[26:27], v[22:23], off
.LBB42_16:                              ;   in Loop: Header=BB42_6 Depth=1
	s_or_b64 exec, exec, s[44:45]
.LBB42_17:                              ;   in Loop: Header=BB42_6 Depth=1
	s_or_b64 exec, exec, s[38:39]
	s_cbranch_execnz .LBB42_5
	s_branch .LBB42_25
.LBB42_18:                              ;   in Loop: Header=BB42_6 Depth=1
                                        ; implicit-def: $vgpr25
	s_cbranch_execz .LBB42_12
; %bb.19:                               ;   in Loop: Header=BB42_6 Depth=1
	s_waitcnt lgkmcnt(0)
	v_mov_b32_e32 v25, 0
	v_mov_b32_e32 v24, 0
	s_and_saveexec_b64 s[38:39], s[4:5]
	s_cbranch_execz .LBB42_23
; %bb.20:                               ;   in Loop: Header=BB42_6 Depth=1
	v_mov_b32_e32 v25, s27
	v_add_co_u32_e32 v24, vcc, s26, v14
	v_addc_co_u32_e32 v25, vcc, 0, v25, vcc
	v_cmp_gt_i64_e32 vcc, s[16:17], v[24:25]
	v_mov_b32_e32 v25, 0
	v_mov_b32_e32 v24, 0
	s_and_saveexec_b64 s[44:45], vcc
	s_cbranch_execz .LBB42_22
; %bb.21:                               ;   in Loop: Header=BB42_6 Depth=1
	global_load_dwordx2 v[24:25], v[16:17], off
.LBB42_22:                              ;   in Loop: Header=BB42_6 Depth=1
	s_or_b64 exec, exec, s[44:45]
.LBB42_23:                              ;   in Loop: Header=BB42_6 Depth=1
	s_or_b64 exec, exec, s[38:39]
	s_and_b64 vcc, exec, s[30:31]
	s_cbranch_vccnz .LBB42_13
.LBB42_24:                              ;   in Loop: Header=BB42_6 Depth=1
                                        ; implicit-def: $vgpr27
.LBB42_25:                              ;   in Loop: Header=BB42_6 Depth=1
	s_waitcnt vmcnt(0)
	v_mov_b32_e32 v26, 0
	v_mov_b32_e32 v27, 0
	s_and_saveexec_b64 s[38:39], s[0:1]
	s_cbranch_execz .LBB42_4
; %bb.26:                               ;   in Loop: Header=BB42_6 Depth=1
	v_mov_b32_e32 v27, s27
	v_add_co_u32_e32 v26, vcc, s26, v28
	v_addc_co_u32_e32 v27, vcc, 0, v27, vcc
	v_cmp_gt_i64_e32 vcc, s[16:17], v[26:27]
	v_mov_b32_e32 v27, 0
	v_mov_b32_e32 v26, 0
	s_and_saveexec_b64 s[44:45], vcc
	s_cbranch_execz .LBB42_3
; %bb.27:                               ;   in Loop: Header=BB42_6 Depth=1
	global_load_dwordx2 v[26:27], v[20:21], off
	s_branch .LBB42_3
.LBB42_28:
	ds_read_b32 v18, v30
.LBB42_29:
	s_lshl_b64 s[0:1], s[40:41], 3
	s_waitcnt lgkmcnt(0)
	s_add_u32 s2, s14, s0
	s_addc_u32 s3, s15, s1
	v_mul_lo_u32 v14, v7, s28
	v_mul_lo_u32 v16, v6, s29
	v_mad_u64_u32 v[6:7], s[0:1], v6, s28, 0
	v_add3_u32 v7, v7, v16, v14
	v_mul_lo_u32 v14, v5, s42
	v_mul_lo_u32 v16, v4, s43
	v_mad_u64_u32 v[4:5], s[0:1], v4, s42, 0
	v_lshlrev_b64 v[6:7], 3, v[6:7]
	v_add3_u32 v5, v5, v16, v14
	v_mov_b32_e32 v14, s3
	v_add_co_u32_e32 v6, vcc, s2, v6
	v_addc_co_u32_e32 v7, vcc, v14, v7, vcc
	v_lshlrev_b64 v[4:5], 3, v[4:5]
	v_add_co_u32_e32 v16, vcc, v6, v4
	v_lshl_or_b32 v6, v15, 4, v10
	v_addc_co_u32_e32 v17, vcc, v7, v5, vcc
	v_mbcnt_hi_u32_b32 v7, -1, v29
	v_and_b32_e32 v6, 63, v6
	v_and_or_b32 v6, v7, 64, v6
	v_lshlrev_b32_e32 v14, 2, v6
	v_mad_u64_u32 v[6:7], s[0:1], v10, s28, 0
	v_cmp_lt_u64_e32 vcc, v[10:11], v[8:9]
	v_mov_b32_e32 v8, v7
	v_mad_u64_u32 v[8:9], s[0:1], v10, s29, v[8:9]
	v_mov_b32_e32 v7, v8
	v_lshlrev_b64 v[8:9], 3, v[6:7]
	ds_bpermute_b32 v6, v14, v18
	ds_bpermute_b32 v7, v14, v26
	v_add_co_u32_e64 v10, s[0:1], v16, v8
	v_lshlrev_b32_e32 v4, 2, v28
	v_mov_b32_e32 v5, 0
	v_addc_co_u32_e64 v11, s[0:1], v17, v9, s[0:1]
	v_cmp_lt_u64_e64 s[0:1], v[4:5], v[2:3]
	s_and_b64 s[0:1], vcc, s[0:1]
	s_and_saveexec_b64 s[2:3], s[0:1]
	s_cbranch_execz .LBB42_31
; %bb.30:
	v_mad_u64_u32 v[8:9], s[0:1], v4, s42, 0
	v_mov_b32_e32 v16, v9
	v_mad_u64_u32 v[16:17], s[0:1], v4, s43, v[16:17]
	v_mov_b32_e32 v9, v16
	v_lshlrev_b64 v[8:9], 3, v[8:9]
	v_add_co_u32_e64 v8, s[0:1], v10, v8
	v_addc_co_u32_e64 v9, s[0:1], v11, v9, s[0:1]
	global_load_dwordx2 v[16:17], v[8:9], off
	s_waitcnt lgkmcnt(0)
	v_pk_mul_f32 v[18:19], s[12:13], v[6:7]
	v_mul_f32_e32 v7, s12, v7
	v_fmac_f32_e32 v7, s13, v6
	v_sub_f32_e32 v15, v18, v19
	s_waitcnt vmcnt(0)
	v_mul_f32_e32 v6, s9, v17
	v_mul_f32_e32 v17, s8, v17
	v_fma_f32 v6, s8, v16, -v6
	v_fmac_f32_e32 v17, s9, v16
	v_add_f32_e32 v6, v15, v6
	v_add_f32_e32 v7, v7, v17
	global_store_dwordx2 v[8:9], v[6:7], off
.LBB42_31:
	s_or_b64 exec, exec, s[2:3]
	s_waitcnt lgkmcnt(1)
	ds_bpermute_b32 v6, v14, v25
	s_waitcnt lgkmcnt(1)
	ds_bpermute_b32 v7, v14, v27
	v_or_b32_e32 v8, 1, v4
	v_mov_b32_e32 v9, v5
	v_cmp_lt_u64_e64 s[0:1], v[8:9], v[2:3]
	s_and_b64 s[0:1], vcc, s[0:1]
	s_and_saveexec_b64 s[2:3], s[0:1]
	s_cbranch_execz .LBB42_33
; %bb.32:
	v_mad_u64_u32 v[16:17], s[0:1], v8, s42, 0
	v_mov_b32_e32 v18, v17
	v_mad_u64_u32 v[8:9], s[0:1], v8, s43, v[18:19]
	v_mov_b32_e32 v17, v8
	v_lshlrev_b64 v[8:9], 3, v[16:17]
	v_add_co_u32_e64 v8, s[0:1], v10, v8
	v_addc_co_u32_e64 v9, s[0:1], v11, v9, s[0:1]
	global_load_dwordx2 v[16:17], v[8:9], off
	s_waitcnt lgkmcnt(1)
	v_mul_f32_e32 v15, s13, v6
	s_waitcnt lgkmcnt(0)
	v_pk_mul_f32 v[18:19], s[12:13], v[6:7]
	v_fmac_f32_e32 v15, s12, v7
	v_sub_f32_e32 v6, v18, v19
	s_waitcnt vmcnt(0)
	v_mul_f32_e32 v7, s9, v17
	v_mul_f32_e32 v17, s8, v17
	v_fma_f32 v7, s8, v16, -v7
	v_fmac_f32_e32 v17, s9, v16
	v_add_f32_e32 v6, v6, v7
	v_add_f32_e32 v7, v15, v17
	global_store_dwordx2 v[8:9], v[6:7], off
.LBB42_33:
	s_or_b64 exec, exec, s[2:3]
	s_waitcnt lgkmcnt(1)
	ds_bpermute_b32 v6, v14, v12
	s_waitcnt lgkmcnt(1)
	ds_bpermute_b32 v7, v14, v0
	v_or_b32_e32 v8, 2, v4
	v_mov_b32_e32 v9, v5
	v_cmp_lt_u64_e64 s[0:1], v[8:9], v[2:3]
	s_and_b64 s[0:1], vcc, s[0:1]
	s_and_saveexec_b64 s[2:3], s[0:1]
	s_cbranch_execz .LBB42_35
; %bb.34:
	v_mad_u64_u32 v[16:17], s[0:1], v8, s42, 0
	v_mov_b32_e32 v0, v17
	v_mad_u64_u32 v[8:9], s[0:1], v8, s43, v[0:1]
	v_mov_b32_e32 v17, v8
	v_lshlrev_b64 v[8:9], 3, v[16:17]
	v_add_co_u32_e64 v8, s[0:1], v10, v8
	v_addc_co_u32_e64 v9, s[0:1], v11, v9, s[0:1]
	global_load_dwordx2 v[16:17], v[8:9], off
	s_waitcnt lgkmcnt(1)
	v_mul_f32_e32 v0, s13, v6
	s_waitcnt lgkmcnt(0)
	v_pk_mul_f32 v[18:19], s[12:13], v[6:7]
	v_fmac_f32_e32 v0, s12, v7
	v_sub_f32_e32 v6, v18, v19
	s_waitcnt vmcnt(0)
	v_mul_f32_e32 v7, s9, v17
	v_mul_f32_e32 v12, s8, v17
	v_fma_f32 v7, s8, v16, -v7
	v_fmac_f32_e32 v12, s9, v16
	v_add_f32_e32 v6, v6, v7
	v_add_f32_e32 v7, v0, v12
	global_store_dwordx2 v[8:9], v[6:7], off
.LBB42_35:
	s_or_b64 exec, exec, s[2:3]
	ds_bpermute_b32 v0, v14, v13
	ds_bpermute_b32 v1, v14, v1
	v_or_b32_e32 v4, 3, v4
	v_cmp_lt_u64_e64 s[0:1], v[4:5], v[2:3]
	s_and_b64 s[0:1], vcc, s[0:1]
	s_and_b64 exec, exec, s[0:1]
	s_cbranch_execz .LBB42_37
; %bb.36:
	v_mad_u64_u32 v[2:3], s[0:1], v4, s42, 0
	s_waitcnt lgkmcnt(3)
	v_mov_b32_e32 v6, v3
	s_waitcnt lgkmcnt(2)
	v_mad_u64_u32 v[4:5], s[0:1], v4, s43, v[6:7]
	v_mov_b32_e32 v3, v4
	v_lshlrev_b64 v[2:3], 3, v[2:3]
	v_add_co_u32_e32 v2, vcc, v10, v2
	v_addc_co_u32_e32 v3, vcc, v11, v3, vcc
	global_load_dwordx2 v[4:5], v[2:3], off
	s_waitcnt lgkmcnt(0)
	v_pk_mul_f32 v[6:7], s[12:13], v[0:1]
	v_mov_b32_e32 v6, v1
	s_mov_b32 s0, s13
	v_mov_b32_e32 v8, v7
	v_pk_mul_f32 v[6:7], s[12:13], v[6:7] op_sel_hi:[1,0]
	v_pk_fma_f32 v[8:9], s[12:13], v[0:1], v[8:9] neg_lo:[0,0,1] neg_hi:[0,0,1]
	v_pk_fma_f32 v[0:1], s[0:1], v[0:1], v[6:7]
	s_mov_b32 s2, s9
	s_waitcnt vmcnt(0)
	v_pk_mul_f32 v[6:7], s[8:9], v[4:5]
	v_mov_b32_e32 v6, v5
	v_mov_b32_e32 v10, v7
	v_pk_mul_f32 v[6:7], s[8:9], v[6:7]
	v_pk_fma_f32 v[10:11], s[8:9], v[4:5], v[10:11] neg_lo:[0,0,1] neg_hi:[0,0,1]
	v_pk_fma_f32 v[4:5], s[2:3], v[4:5], v[6:7]
	v_pk_add_f32 v[6:7], v[8:9], v[10:11]
	v_pk_add_f32 v[0:1], v[0:1], v[4:5]
	v_mov_b32_e32 v7, v0
	global_store_dwordx2 v[2:3], v[6:7], off
.LBB42_37:
	s_endpgm
	.section	.rodata,"a",@progbits
	.p2align	6, 0x0
	.amdhsa_kernel _ZN9rocsolver6v33100L16mfma_gemm_kernelI19rocblas_complex_numIfElPKS3_PS3_PKS6_S8_EEv18rocblas_operation_S9_T0_SA_SA_T1_T2_lSA_SA_lT3_lSA_SA_lSB_T4_lSA_SA_l
		.amdhsa_group_segment_fixed_size 20480
		.amdhsa_private_segment_fixed_size 0
		.amdhsa_kernarg_size 424
		.amdhsa_user_sgpr_count 8
		.amdhsa_user_sgpr_private_segment_buffer 1
		.amdhsa_user_sgpr_dispatch_ptr 1
		.amdhsa_user_sgpr_queue_ptr 0
		.amdhsa_user_sgpr_kernarg_segment_ptr 1
		.amdhsa_user_sgpr_dispatch_id 0
		.amdhsa_user_sgpr_flat_scratch_init 0
		.amdhsa_user_sgpr_kernarg_preload_length 0
		.amdhsa_user_sgpr_kernarg_preload_offset 0
		.amdhsa_user_sgpr_private_segment_size 0
		.amdhsa_uses_dynamic_stack 0
		.amdhsa_system_sgpr_private_segment_wavefront_offset 0
		.amdhsa_system_sgpr_workgroup_id_x 1
		.amdhsa_system_sgpr_workgroup_id_y 1
		.amdhsa_system_sgpr_workgroup_id_z 1
		.amdhsa_system_sgpr_workgroup_info 0
		.amdhsa_system_vgpr_workitem_id 2
		.amdhsa_next_free_vgpr 51
		.amdhsa_next_free_sgpr 55
		.amdhsa_accum_offset 52
		.amdhsa_reserve_vcc 1
		.amdhsa_reserve_flat_scratch 0
		.amdhsa_float_round_mode_32 0
		.amdhsa_float_round_mode_16_64 0
		.amdhsa_float_denorm_mode_32 3
		.amdhsa_float_denorm_mode_16_64 3
		.amdhsa_dx10_clamp 1
		.amdhsa_ieee_mode 1
		.amdhsa_fp16_overflow 0
		.amdhsa_tg_split 0
		.amdhsa_exception_fp_ieee_invalid_op 0
		.amdhsa_exception_fp_denorm_src 0
		.amdhsa_exception_fp_ieee_div_zero 0
		.amdhsa_exception_fp_ieee_overflow 0
		.amdhsa_exception_fp_ieee_underflow 0
		.amdhsa_exception_fp_ieee_inexact 0
		.amdhsa_exception_int_div_zero 0
	.end_amdhsa_kernel
	.section	.text._ZN9rocsolver6v33100L16mfma_gemm_kernelI19rocblas_complex_numIfElPKS3_PS3_PKS6_S8_EEv18rocblas_operation_S9_T0_SA_SA_T1_T2_lSA_SA_lT3_lSA_SA_lSB_T4_lSA_SA_l,"axG",@progbits,_ZN9rocsolver6v33100L16mfma_gemm_kernelI19rocblas_complex_numIfElPKS3_PS3_PKS6_S8_EEv18rocblas_operation_S9_T0_SA_SA_T1_T2_lSA_SA_lT3_lSA_SA_lSB_T4_lSA_SA_l,comdat
.Lfunc_end42:
	.size	_ZN9rocsolver6v33100L16mfma_gemm_kernelI19rocblas_complex_numIfElPKS3_PS3_PKS6_S8_EEv18rocblas_operation_S9_T0_SA_SA_T1_T2_lSA_SA_lT3_lSA_SA_lSB_T4_lSA_SA_l, .Lfunc_end42-_ZN9rocsolver6v33100L16mfma_gemm_kernelI19rocblas_complex_numIfElPKS3_PS3_PKS6_S8_EEv18rocblas_operation_S9_T0_SA_SA_T1_T2_lSA_SA_lT3_lSA_SA_lSB_T4_lSA_SA_l
                                        ; -- End function
	.section	.AMDGPU.csdata,"",@progbits
; Kernel info:
; codeLenInByte = 2688
; NumSgprs: 59
; NumVgprs: 51
; NumAgprs: 0
; TotalNumVgprs: 51
; ScratchSize: 0
; MemoryBound: 0
; FloatMode: 240
; IeeeMode: 1
; LDSByteSize: 20480 bytes/workgroup (compile time only)
; SGPRBlocks: 7
; VGPRBlocks: 6
; NumSGPRsForWavesPerEU: 59
; NumVGPRsForWavesPerEU: 51
; AccumOffset: 52
; Occupancy: 8
; WaveLimiterHint : 1
; COMPUTE_PGM_RSRC2:SCRATCH_EN: 0
; COMPUTE_PGM_RSRC2:USER_SGPR: 8
; COMPUTE_PGM_RSRC2:TRAP_HANDLER: 0
; COMPUTE_PGM_RSRC2:TGID_X_EN: 1
; COMPUTE_PGM_RSRC2:TGID_Y_EN: 1
; COMPUTE_PGM_RSRC2:TGID_Z_EN: 1
; COMPUTE_PGM_RSRC2:TIDIG_COMP_CNT: 2
; COMPUTE_PGM_RSRC3_GFX90A:ACCUM_OFFSET: 12
; COMPUTE_PGM_RSRC3_GFX90A:TG_SPLIT: 0
	.section	.text._ZN9rocsolver6v33100L16mfma_gemm_kernelI19rocblas_complex_numIfElS3_PS3_PKS4_S6_EEv18rocblas_operation_S7_T0_S8_S8_T1_T2_lS8_S8_lT3_lS8_S8_lS9_T4_lS8_S8_l,"axG",@progbits,_ZN9rocsolver6v33100L16mfma_gemm_kernelI19rocblas_complex_numIfElS3_PS3_PKS4_S6_EEv18rocblas_operation_S7_T0_S8_S8_T1_T2_lS8_S8_lT3_lS8_S8_lS9_T4_lS8_S8_l,comdat
	.globl	_ZN9rocsolver6v33100L16mfma_gemm_kernelI19rocblas_complex_numIfElS3_PS3_PKS4_S6_EEv18rocblas_operation_S7_T0_S8_S8_T1_T2_lS8_S8_lT3_lS8_S8_lS9_T4_lS8_S8_l ; -- Begin function _ZN9rocsolver6v33100L16mfma_gemm_kernelI19rocblas_complex_numIfElS3_PS3_PKS4_S6_EEv18rocblas_operation_S7_T0_S8_S8_T1_T2_lS8_S8_lT3_lS8_S8_lS9_T4_lS8_S8_l
	.p2align	8
	.type	_ZN9rocsolver6v33100L16mfma_gemm_kernelI19rocblas_complex_numIfElS3_PS3_PKS4_S6_EEv18rocblas_operation_S7_T0_S8_S8_T1_T2_lS8_S8_lT3_lS8_S8_lS9_T4_lS8_S8_l,@function
_ZN9rocsolver6v33100L16mfma_gemm_kernelI19rocblas_complex_numIfElS3_PS3_PKS4_S6_EEv18rocblas_operation_S7_T0_S8_S8_T1_T2_lS8_S8_lT3_lS8_S8_lS9_T4_lS8_S8_l: ; @_ZN9rocsolver6v33100L16mfma_gemm_kernelI19rocblas_complex_numIfElS3_PS3_PKS4_S6_EEv18rocblas_operation_S7_T0_S8_S8_T1_T2_lS8_S8_lT3_lS8_S8_lS9_T4_lS8_S8_l
; %bb.0:
	s_load_dword s0, s[6:7], 0xb4
	s_load_dwordx4 s[12:15], s[6:7], 0x8
	v_and_b32_e32 v1, 0x3ff, v0
	v_lshrrev_b32_e32 v2, 6, v1
	v_mov_b32_e32 v3, 0
	s_waitcnt lgkmcnt(0)
	s_lshr_b32 s2, s0, 16
	s_bfe_u32 s0, s0, 0xa0006
	v_mov_b32_e32 v4, s8
	v_bfe_u32 v8, v0, 10, 10
	v_mov_b32_e32 v9, v3
	v_mad_u64_u32 v[16:17], s[0:1], s0, v4, v[2:3]
	v_mov_b32_e32 v2, s9
	v_mad_u64_u32 v[20:21], s[0:1], s2, v2, v[8:9]
	v_lshlrev_b64 v[4:5], 4, v[16:17]
	v_lshlrev_b64 v[6:7], 4, v[20:21]
	v_cmp_gt_i64_e32 vcc, s[12:13], v[4:5]
	v_cmp_gt_i64_e64 s[0:1], s[14:15], v[6:7]
	s_mov_b32 s11, 0
	s_and_b64 s[0:1], vcc, s[0:1]
	s_and_saveexec_b64 s[2:3], s[0:1]
	s_cbranch_execz .LBB43_37
; %bb.1:
	s_load_dwordx2 s[0:1], s[4:5], 0x4
	s_load_dwordx8 s[36:43], s[6:7], 0x80
	v_bfe_u32 v0, v0, 20, 10
	s_lshl_b64 s[2:3], s[10:11], 3
	s_load_dwordx4 s[28:31], s[6:7], 0x18
	s_load_dwordx2 s[8:9], s[6:7], 0x78
	s_waitcnt lgkmcnt(0)
	s_lshr_b32 s0, s0, 16
	s_mul_i32 s0, s0, s1
	v_mul_u32_u24_e32 v2, s1, v8
	v_mul_lo_u32 v8, s0, v1
	v_add3_u32 v0, v8, v2, v0
	v_add_co_u32_e32 v8, vcc, 16, v4
	v_addc_co_u32_e32 v9, vcc, 0, v5, vcc
	s_and_b32 s0, s12, 15
	v_mul_lo_u32 v30, v0, 20
	v_mov_b32_e32 v0, s0
	v_cmp_lt_u64_e32 vcc, s[12:13], v[8:9]
	s_and_b32 s0, s14, 15
	v_cndmask_b32_e32 v2, 16, v0, vcc
	v_mov_b32_e32 v0, s0
	s_add_u32 s0, s36, s2
	s_addc_u32 s1, s37, s3
	v_add_co_u32_e32 v8, vcc, 16, v6
	s_load_dwordx2 s[34:35], s[0:1], 0x0
	v_addc_co_u32_e32 v9, vcc, 0, v7, vcc
	v_cmp_lt_u64_e32 vcc, s[14:15], v[8:9]
	v_cndmask_b32_e32 v8, 16, v0, vcc
	v_mov_b32_e32 v9, v3
	v_bfe_u32 v10, v1, 2, 4
	v_mov_b32_e32 v11, v3
	v_cmp_lt_i64_e64 s[0:1], s[28:29], 1
	v_and_b32_e32 v15, 63, v1
	v_and_b32_e32 v28, 3, v1
	s_and_b64 vcc, exec, s[0:1]
	v_cmp_lt_u64_e64 s[0:1], v[10:11], v[8:9]
	v_mbcnt_lo_u32_b32 v29, -1, 0
	v_mov_b32_e32 v13, v3
	v_mov_b32_e32 v0, v3
	;; [unrolled: 1-line block ×8, first 2 shown]
	ds_write2_b32 v30, v3, v3 offset0:2 offset1:3
	ds_write2_b32 v30, v3, v3 offset1:1
	ds_write_b32 v30, v3 offset:16
	s_cbranch_vccnz .LBB43_29
; %bb.2:
	s_load_dwordx16 s[12:27], s[6:7], 0x28
	s_load_dwordx2 s[46:47], s[6:7], 0x0
	s_load_dwordx2 s[48:49], s[6:7], 0x68
	v_lshrrev_b32_e32 v14, 4, v15
	v_and_b32_e32 v0, 15, v15
	s_waitcnt lgkmcnt(0)
	s_add_u32 s2, s22, s2
	s_addc_u32 s3, s23, s3
	s_cmpk_lg_i32 s46, 0x6f
	s_cselect_b64 s[22:23], -1, 0
	s_cmpk_lg_i32 s47, 0x6f
	s_cselect_b64 s[36:37], -1, 0
	s_cmpk_eq_i32 s47, 0x6f
	s_cselect_b32 s33, s48, s26
	s_cselect_b32 s54, s49, s27
	s_cmpk_eq_i32 s46, 0x6f
	s_cselect_b32 s11, s16, s18
	s_cselect_b32 s52, s17, s19
	v_mul_lo_u32 v18, s52, v16
	v_mul_lo_u32 v17, s11, v17
	v_mad_u64_u32 v[12:13], s[52:53], s11, v16, 0
	v_add3_u32 v13, v13, v17, v18
	v_mad_u64_u32 v[16:17], s[52:53], s18, v14, 0
	v_mov_b32_e32 v18, v17
	v_mad_u64_u32 v[18:19], s[52:53], s19, v14, v[18:19]
	s_cmpk_eq_i32 s46, 0x71
	v_mov_b32_e32 v17, v18
	s_cselect_b64 s[44:45], -1, 0
	s_cmpk_eq_i32 s47, 0x71
	v_lshlrev_b64 v[12:13], 7, v[12:13]
	v_lshlrev_b64 v[16:17], 3, v[16:17]
	s_mul_i32 s11, s21, s10
	s_mul_hi_u32 s21, s20, s10
	s_cselect_b64 s[46:47], -1, 0
	v_add_co_u32_e32 v16, vcc, v12, v16
	s_add_i32 s11, s21, s11
	s_mul_i32 s10, s20, s10
	v_addc_co_u32_e32 v17, vcc, v13, v17, vcc
	s_lshl_b64 s[20:21], s[10:11], 3
	v_mov_b32_e32 v24, s21
	v_add_co_u32_e32 v22, vcc, s20, v16
	v_addc_co_u32_e32 v23, vcc, v17, v24, vcc
	v_mad_u64_u32 v[16:17], s[10:11], s16, v0, 0
	v_mov_b32_e32 v18, v17
	v_mad_u64_u32 v[18:19], s[10:11], s17, v0, v[18:19]
	v_mov_b32_e32 v17, v18
	v_lshlrev_b64 v[16:17], 3, v[16:17]
	s_lshl_b64 s[10:11], s[14:15], 3
	v_add_co_u32_e32 v16, vcc, v22, v16
	s_add_u32 s14, s12, s10
	v_addc_co_u32_e32 v17, vcc, v23, v17, vcc
	s_addc_u32 s15, s13, s11
	v_mov_b32_e32 v18, s15
	v_add_co_u32_e32 v16, vcc, s14, v16
	v_addc_co_u32_e32 v17, vcc, v18, v17, vcc
	v_mad_u64_u32 v[18:19], s[12:13], s18, v10, 0
	v_mov_b32_e32 v22, v19
	v_mad_u64_u32 v[22:23], s[12:13], s19, v10, v[22:23]
	v_mov_b32_e32 v19, v22
	v_lshlrev_b64 v[18:19], 3, v[18:19]
	v_add_co_u32_e32 v12, vcc, v12, v18
	v_addc_co_u32_e32 v13, vcc, v13, v19, vcc
	v_add_co_u32_e32 v22, vcc, s20, v12
	v_addc_co_u32_e32 v23, vcc, v13, v24, vcc
	v_mad_u64_u32 v[12:13], s[12:13], s16, v28, 0
	v_mov_b32_e32 v18, v13
	v_mad_u64_u32 v[18:19], s[12:13], s17, v28, v[18:19]
	v_mov_b32_e32 v13, v18
	v_lshlrev_b64 v[12:13], 3, v[12:13]
	v_add_co_u32_e32 v12, vcc, v22, v12
	v_addc_co_u32_e32 v13, vcc, v23, v13, vcc
	v_mov_b32_e32 v19, s15
	v_add_co_u32_e32 v18, vcc, s14, v12
	v_addc_co_u32_e32 v19, vcc, v19, v13, vcc
	v_mul_lo_u32 v22, s54, v20
	v_mul_lo_u32 v21, s33, v21
	v_mad_u64_u32 v[12:13], s[14:15], s33, v20, 0
	v_add3_u32 v13, v13, v21, v22
	v_mad_u64_u32 v[20:21], s[14:15], s48, v10, 0
	v_mov_b32_e32 v22, v21
	v_mad_u64_u32 v[22:23], s[14:15], s49, v10, v[22:23]
	v_mov_b32_e32 v21, v22
	v_lshlrev_b64 v[12:13], 7, v[12:13]
	v_lshlrev_b64 v[20:21], 3, v[20:21]
	v_add_co_u32_e32 v24, vcc, v12, v20
	s_load_dwordx2 s[50:51], s[2:3], 0x0
	v_addc_co_u32_e32 v25, vcc, v13, v21, vcc
	v_mad_u64_u32 v[20:21], s[14:15], s26, v28, 0
	v_mov_b32_e32 v22, v21
	v_mad_u64_u32 v[22:23], s[14:15], s27, v28, v[22:23]
	v_mov_b32_e32 v21, v22
	s_lshl_b64 s[10:11], s[18:19], 5
	s_lshl_b64 s[12:13], s[16:17], 5
	v_lshlrev_b64 v[20:21], 3, v[20:21]
	s_lshl_b64 s[14:15], s[24:25], 3
	v_add_co_u32_e32 v20, vcc, v24, v20
	s_waitcnt lgkmcnt(0)
	s_add_u32 s18, s50, s14
	v_addc_co_u32_e32 v21, vcc, v25, v21, vcc
	s_addc_u32 s19, s51, s15
	v_mov_b32_e32 v22, s19
	v_add_co_u32_e32 v20, vcc, s18, v20
	v_addc_co_u32_e32 v21, vcc, v22, v21, vcc
	v_mad_u64_u32 v[22:23], s[16:17], s48, v14, 0
	v_mov_b32_e32 v24, v23
	v_mad_u64_u32 v[24:25], s[16:17], s49, v14, v[24:25]
	v_mov_b32_e32 v23, v24
	v_lshlrev_b64 v[22:23], 3, v[22:23]
	v_add_co_u32_e32 v24, vcc, v12, v22
	v_addc_co_u32_e32 v25, vcc, v13, v23, vcc
	v_mad_u64_u32 v[12:13], s[16:17], s26, v0, 0
	v_mov_b32_e32 v22, v13
	v_mad_u64_u32 v[22:23], s[16:17], s27, v0, v[22:23]
	v_mov_b32_e32 v13, v22
	v_mov_b32_e32 v1, 0
	v_lshlrev_b64 v[12:13], 3, v[12:13]
	v_lshl_or_b32 v26, v0, 2, v14
	v_cmp_lt_u64_e64 s[4:5], v[0:1], v[2:3]
	v_cmp_lt_u64_e64 s[6:7], v[0:1], v[8:9]
	v_add_co_u32_e32 v0, vcc, v24, v12
	v_addc_co_u32_e32 v12, vcc, v25, v13, vcc
	v_add_co_u32_e32 v22, vcc, s18, v0
	v_mbcnt_hi_u32_b32 v0, -1, v29
	v_mov_b32_e32 v13, s19
	v_and_or_b32 v0, v0, 64, v26
	v_cmp_lt_u64_e64 s[2:3], v[10:11], v[2:3]
	s_lshl_b64 s[14:15], s[26:27], 5
	v_addc_co_u32_e32 v23, vcc, v13, v12, vcc
	s_lshl_b64 s[16:17], s[48:49], 5
	s_mov_b64 s[18:19], 0
	v_lshlrev_b32_e32 v31, 2, v0
	v_mov_b32_e32 v12, v1
	v_mov_b32_e32 v0, v1
	;; [unrolled: 1-line block ×3, first 2 shown]
	s_branch .LBB43_6
.LBB43_3:                               ;   in Loop: Header=BB43_6 Depth=1
	s_or_b64 exec, exec, s[24:25]
.LBB43_4:                               ;   in Loop: Header=BB43_6 Depth=1
	s_or_b64 exec, exec, s[20:21]
	s_waitcnt vmcnt(0)
	ds_bpermute_b32 v26, v31, v26
	ds_bpermute_b32 v27, v31, v27
.LBB43_5:                               ;   in Loop: Header=BB43_6 Depth=1
	s_waitcnt vmcnt(0) lgkmcnt(0)
	v_cndmask_b32_e64 v50, v25, -v25, s[44:45]
	v_cndmask_b32_e64 v27, v27, -v27, s[46:47]
	v_mfma_f32_16x16x4f32 v[32:35], v24, v26, 0
	v_add_co_u32_e32 v16, vcc, s10, v16
	s_add_u32 s18, s18, 4
	s_addc_u32 s19, s19, 0
	v_mfma_f32_16x16x4f32 v[40:43], v50, v27, 0
	v_mfma_f32_16x16x4f32 v[36:39], v24, v27, 0
	ds_read2_b32 v[24:25], v30 offset1:1
	ds_read2_b32 v[44:45], v30 offset0:3 offset1:4
	ds_read2_b32 v[46:47], v30 offset0:2 offset1:3
	;; [unrolled: 1-line block ×3, first 2 shown]
	s_nop 5
	v_sub_f32_e32 v35, v35, v43
	v_sub_f32_e32 v34, v34, v42
	;; [unrolled: 1-line block ×4, first 2 shown]
	s_waitcnt lgkmcnt(1)
	v_mov_b32_e32 v25, v46
	v_pk_add_f32 v[24:25], v[24:25], v[32:33]
	v_pk_add_f32 v[12:13], v[12:13], v[34:35]
	v_mfma_f32_16x16x4f32 v[32:35], v50, v26, 0
	s_waitcnt lgkmcnt(0)
	v_mov_b32_e32 v49, v44
	s_nop 7
	s_nop 0
	v_pk_add_f32 v[26:27], v[38:39], v[34:35]
	v_pk_add_f32 v[32:33], v[36:37], v[32:33]
	v_pk_add_f32 v[0:1], v[0:1], v[26:27]
	v_pk_add_f32 v[26:27], v[48:49], v[32:33]
	ds_write2_b32 v30, v24, v26 offset1:1
	ds_write2_b32 v30, v25, v27 offset0:2 offset1:3
	ds_write_b32 v30, v12 offset:16
	v_mov_b32_e32 v24, s11
	v_addc_co_u32_e32 v17, vcc, v17, v24, vcc
	v_mov_b32_e32 v24, s13
	v_add_co_u32_e32 v18, vcc, s12, v18
	v_addc_co_u32_e32 v19, vcc, v19, v24, vcc
	v_mov_b32_e32 v24, s15
	v_add_co_u32_e32 v20, vcc, s14, v20
	;; [unrolled: 3-line block ×3, first 2 shown]
	v_addc_co_u32_e32 v23, vcc, v23, v24, vcc
	v_pk_mov_b32 v[32:33], s[28:29], s[28:29] op_sel:[0,1]
	v_cmp_ge_i64_e32 vcc, s[18:19], v[32:33]
	s_cbranch_vccnz .LBB43_28
.LBB43_6:                               ; =>This Inner Loop Header: Depth=1
	s_and_b64 vcc, exec, s[22:23]
	s_cbranch_vccz .LBB43_18
; %bb.7:                                ;   in Loop: Header=BB43_6 Depth=1
	v_mov_b32_e32 v24, 0
	v_mov_b32_e32 v25, 0
	s_and_saveexec_b64 s[20:21], s[2:3]
	s_cbranch_execz .LBB43_11
; %bb.8:                                ;   in Loop: Header=BB43_6 Depth=1
	v_mov_b32_e32 v25, s19
	v_add_co_u32_e32 v24, vcc, s18, v28
	v_addc_co_u32_e32 v25, vcc, 0, v25, vcc
	v_cmp_gt_i64_e32 vcc, s[28:29], v[24:25]
	v_mov_b32_e32 v25, 0
	v_mov_b32_e32 v24, 0
	s_and_saveexec_b64 s[24:25], vcc
	s_cbranch_execz .LBB43_10
; %bb.9:                                ;   in Loop: Header=BB43_6 Depth=1
	global_load_dwordx2 v[24:25], v[18:19], off
.LBB43_10:                              ;   in Loop: Header=BB43_6 Depth=1
	s_or_b64 exec, exec, s[24:25]
.LBB43_11:                              ;   in Loop: Header=BB43_6 Depth=1
	s_or_b64 exec, exec, s[20:21]
	s_waitcnt vmcnt(0)
	ds_bpermute_b32 v24, v31, v24
	ds_bpermute_b32 v25, v31, v25
.LBB43_12:                              ;   in Loop: Header=BB43_6 Depth=1
	s_and_b64 vcc, exec, s[36:37]
	s_cbranch_vccz .LBB43_24
.LBB43_13:                              ;   in Loop: Header=BB43_6 Depth=1
	v_mov_b32_e32 v27, 0
	v_mov_b32_e32 v26, 0
	s_and_saveexec_b64 s[20:21], s[6:7]
	s_cbranch_execz .LBB43_17
; %bb.14:                               ;   in Loop: Header=BB43_6 Depth=1
	v_mov_b32_e32 v27, s19
	v_add_co_u32_e32 v26, vcc, s18, v14
	v_addc_co_u32_e32 v27, vcc, 0, v27, vcc
	v_cmp_gt_i64_e32 vcc, s[28:29], v[26:27]
	v_mov_b32_e32 v27, 0
	v_mov_b32_e32 v26, 0
	s_and_saveexec_b64 s[24:25], vcc
	s_cbranch_execz .LBB43_16
; %bb.15:                               ;   in Loop: Header=BB43_6 Depth=1
	global_load_dwordx2 v[26:27], v[22:23], off
.LBB43_16:                              ;   in Loop: Header=BB43_6 Depth=1
	s_or_b64 exec, exec, s[24:25]
.LBB43_17:                              ;   in Loop: Header=BB43_6 Depth=1
	s_or_b64 exec, exec, s[20:21]
	s_cbranch_execnz .LBB43_5
	s_branch .LBB43_25
.LBB43_18:                              ;   in Loop: Header=BB43_6 Depth=1
                                        ; implicit-def: $vgpr25
	s_cbranch_execz .LBB43_12
; %bb.19:                               ;   in Loop: Header=BB43_6 Depth=1
	s_waitcnt lgkmcnt(0)
	v_mov_b32_e32 v25, 0
	v_mov_b32_e32 v24, 0
	s_and_saveexec_b64 s[20:21], s[4:5]
	s_cbranch_execz .LBB43_23
; %bb.20:                               ;   in Loop: Header=BB43_6 Depth=1
	v_mov_b32_e32 v25, s19
	v_add_co_u32_e32 v24, vcc, s18, v14
	v_addc_co_u32_e32 v25, vcc, 0, v25, vcc
	v_cmp_gt_i64_e32 vcc, s[28:29], v[24:25]
	v_mov_b32_e32 v25, 0
	v_mov_b32_e32 v24, 0
	s_and_saveexec_b64 s[24:25], vcc
	s_cbranch_execz .LBB43_22
; %bb.21:                               ;   in Loop: Header=BB43_6 Depth=1
	global_load_dwordx2 v[24:25], v[16:17], off
.LBB43_22:                              ;   in Loop: Header=BB43_6 Depth=1
	s_or_b64 exec, exec, s[24:25]
.LBB43_23:                              ;   in Loop: Header=BB43_6 Depth=1
	s_or_b64 exec, exec, s[20:21]
	s_and_b64 vcc, exec, s[36:37]
	s_cbranch_vccnz .LBB43_13
.LBB43_24:                              ;   in Loop: Header=BB43_6 Depth=1
                                        ; implicit-def: $vgpr27
.LBB43_25:                              ;   in Loop: Header=BB43_6 Depth=1
	s_waitcnt vmcnt(0)
	v_mov_b32_e32 v26, 0
	v_mov_b32_e32 v27, 0
	s_and_saveexec_b64 s[20:21], s[0:1]
	s_cbranch_execz .LBB43_4
; %bb.26:                               ;   in Loop: Header=BB43_6 Depth=1
	v_mov_b32_e32 v27, s19
	v_add_co_u32_e32 v26, vcc, s18, v28
	v_addc_co_u32_e32 v27, vcc, 0, v27, vcc
	v_cmp_gt_i64_e32 vcc, s[28:29], v[26:27]
	v_mov_b32_e32 v27, 0
	v_mov_b32_e32 v26, 0
	s_and_saveexec_b64 s[24:25], vcc
	s_cbranch_execz .LBB43_3
; %bb.27:                               ;   in Loop: Header=BB43_6 Depth=1
	global_load_dwordx2 v[26:27], v[20:21], off
	s_branch .LBB43_3
.LBB43_28:
	ds_read_b32 v18, v30
.LBB43_29:
	s_lshl_b64 s[0:1], s[38:39], 3
	s_waitcnt lgkmcnt(0)
	s_add_u32 s2, s34, s0
	s_addc_u32 s3, s35, s1
	v_mul_lo_u32 v14, v7, s42
	v_mul_lo_u32 v16, v6, s43
	v_mad_u64_u32 v[6:7], s[0:1], v6, s42, 0
	v_add3_u32 v7, v7, v16, v14
	v_mul_lo_u32 v14, v5, s40
	v_mul_lo_u32 v16, v4, s41
	v_mad_u64_u32 v[4:5], s[0:1], v4, s40, 0
	v_lshlrev_b64 v[6:7], 3, v[6:7]
	v_add3_u32 v5, v5, v16, v14
	v_mov_b32_e32 v14, s3
	v_add_co_u32_e32 v6, vcc, s2, v6
	v_addc_co_u32_e32 v7, vcc, v14, v7, vcc
	v_lshlrev_b64 v[4:5], 3, v[4:5]
	v_add_co_u32_e32 v16, vcc, v6, v4
	v_lshl_or_b32 v6, v15, 4, v10
	v_addc_co_u32_e32 v17, vcc, v7, v5, vcc
	v_mbcnt_hi_u32_b32 v7, -1, v29
	v_and_b32_e32 v6, 63, v6
	v_and_or_b32 v6, v7, 64, v6
	v_lshlrev_b32_e32 v14, 2, v6
	v_mad_u64_u32 v[6:7], s[0:1], v10, s42, 0
	v_cmp_lt_u64_e32 vcc, v[10:11], v[8:9]
	v_mov_b32_e32 v8, v7
	v_mad_u64_u32 v[8:9], s[0:1], v10, s43, v[8:9]
	v_mov_b32_e32 v7, v8
	v_lshlrev_b64 v[8:9], 3, v[6:7]
	ds_bpermute_b32 v6, v14, v18
	ds_bpermute_b32 v7, v14, v26
	v_add_co_u32_e64 v10, s[0:1], v16, v8
	v_lshlrev_b32_e32 v4, 2, v28
	v_mov_b32_e32 v5, 0
	v_addc_co_u32_e64 v11, s[0:1], v17, v9, s[0:1]
	v_cmp_lt_u64_e64 s[0:1], v[4:5], v[2:3]
	s_and_b64 s[0:1], vcc, s[0:1]
	s_and_saveexec_b64 s[2:3], s[0:1]
	s_cbranch_execz .LBB43_31
; %bb.30:
	v_mad_u64_u32 v[8:9], s[0:1], v4, s40, 0
	v_mov_b32_e32 v16, v9
	v_mad_u64_u32 v[16:17], s[0:1], v4, s41, v[16:17]
	v_mov_b32_e32 v9, v16
	v_lshlrev_b64 v[8:9], 3, v[8:9]
	v_add_co_u32_e64 v8, s[0:1], v10, v8
	v_addc_co_u32_e64 v9, s[0:1], v11, v9, s[0:1]
	global_load_dwordx2 v[16:17], v[8:9], off
	s_waitcnt lgkmcnt(0)
	v_pk_mul_f32 v[18:19], s[30:31], v[6:7]
	v_mul_f32_e32 v7, s30, v7
	v_fmac_f32_e32 v7, s31, v6
	v_sub_f32_e32 v15, v18, v19
	s_waitcnt vmcnt(0)
	v_mul_f32_e32 v6, s9, v17
	v_mul_f32_e32 v17, s8, v17
	v_fma_f32 v6, s8, v16, -v6
	v_fmac_f32_e32 v17, s9, v16
	v_add_f32_e32 v6, v15, v6
	v_add_f32_e32 v7, v7, v17
	global_store_dwordx2 v[8:9], v[6:7], off
.LBB43_31:
	s_or_b64 exec, exec, s[2:3]
	s_waitcnt lgkmcnt(1)
	ds_bpermute_b32 v6, v14, v25
	s_waitcnt lgkmcnt(1)
	ds_bpermute_b32 v7, v14, v27
	v_or_b32_e32 v8, 1, v4
	v_mov_b32_e32 v9, v5
	v_cmp_lt_u64_e64 s[0:1], v[8:9], v[2:3]
	s_and_b64 s[0:1], vcc, s[0:1]
	s_and_saveexec_b64 s[2:3], s[0:1]
	s_cbranch_execz .LBB43_33
; %bb.32:
	v_mad_u64_u32 v[16:17], s[0:1], v8, s40, 0
	v_mov_b32_e32 v18, v17
	v_mad_u64_u32 v[8:9], s[0:1], v8, s41, v[18:19]
	v_mov_b32_e32 v17, v8
	v_lshlrev_b64 v[8:9], 3, v[16:17]
	v_add_co_u32_e64 v8, s[0:1], v10, v8
	v_addc_co_u32_e64 v9, s[0:1], v11, v9, s[0:1]
	global_load_dwordx2 v[16:17], v[8:9], off
	s_waitcnt lgkmcnt(1)
	v_mul_f32_e32 v15, s31, v6
	s_waitcnt lgkmcnt(0)
	v_pk_mul_f32 v[18:19], s[30:31], v[6:7]
	v_fmac_f32_e32 v15, s30, v7
	v_sub_f32_e32 v6, v18, v19
	s_waitcnt vmcnt(0)
	v_mul_f32_e32 v7, s9, v17
	v_mul_f32_e32 v17, s8, v17
	v_fma_f32 v7, s8, v16, -v7
	v_fmac_f32_e32 v17, s9, v16
	v_add_f32_e32 v6, v6, v7
	v_add_f32_e32 v7, v15, v17
	global_store_dwordx2 v[8:9], v[6:7], off
.LBB43_33:
	s_or_b64 exec, exec, s[2:3]
	s_waitcnt lgkmcnt(1)
	ds_bpermute_b32 v6, v14, v12
	s_waitcnt lgkmcnt(1)
	ds_bpermute_b32 v7, v14, v0
	v_or_b32_e32 v8, 2, v4
	v_mov_b32_e32 v9, v5
	v_cmp_lt_u64_e64 s[0:1], v[8:9], v[2:3]
	s_and_b64 s[0:1], vcc, s[0:1]
	s_and_saveexec_b64 s[2:3], s[0:1]
	s_cbranch_execz .LBB43_35
; %bb.34:
	v_mad_u64_u32 v[16:17], s[0:1], v8, s40, 0
	v_mov_b32_e32 v0, v17
	v_mad_u64_u32 v[8:9], s[0:1], v8, s41, v[0:1]
	v_mov_b32_e32 v17, v8
	v_lshlrev_b64 v[8:9], 3, v[16:17]
	v_add_co_u32_e64 v8, s[0:1], v10, v8
	v_addc_co_u32_e64 v9, s[0:1], v11, v9, s[0:1]
	global_load_dwordx2 v[16:17], v[8:9], off
	s_waitcnt lgkmcnt(1)
	v_mul_f32_e32 v0, s31, v6
	s_waitcnt lgkmcnt(0)
	v_pk_mul_f32 v[18:19], s[30:31], v[6:7]
	v_fmac_f32_e32 v0, s30, v7
	v_sub_f32_e32 v6, v18, v19
	s_waitcnt vmcnt(0)
	v_mul_f32_e32 v7, s9, v17
	v_mul_f32_e32 v12, s8, v17
	v_fma_f32 v7, s8, v16, -v7
	v_fmac_f32_e32 v12, s9, v16
	v_add_f32_e32 v6, v6, v7
	v_add_f32_e32 v7, v0, v12
	global_store_dwordx2 v[8:9], v[6:7], off
.LBB43_35:
	s_or_b64 exec, exec, s[2:3]
	ds_bpermute_b32 v0, v14, v13
	ds_bpermute_b32 v1, v14, v1
	v_or_b32_e32 v4, 3, v4
	v_cmp_lt_u64_e64 s[0:1], v[4:5], v[2:3]
	s_and_b64 s[0:1], vcc, s[0:1]
	s_and_b64 exec, exec, s[0:1]
	s_cbranch_execz .LBB43_37
; %bb.36:
	v_mad_u64_u32 v[2:3], s[0:1], v4, s40, 0
	s_waitcnt lgkmcnt(3)
	v_mov_b32_e32 v6, v3
	s_waitcnt lgkmcnt(2)
	v_mad_u64_u32 v[4:5], s[0:1], v4, s41, v[6:7]
	v_mov_b32_e32 v3, v4
	v_lshlrev_b64 v[2:3], 3, v[2:3]
	v_add_co_u32_e32 v2, vcc, v10, v2
	v_addc_co_u32_e32 v3, vcc, v11, v3, vcc
	global_load_dwordx2 v[4:5], v[2:3], off
	s_waitcnt lgkmcnt(0)
	v_pk_mul_f32 v[6:7], s[30:31], v[0:1]
	v_mov_b32_e32 v6, v1
	s_mov_b32 s0, s31
	v_mov_b32_e32 v8, v7
	v_pk_mul_f32 v[6:7], s[30:31], v[6:7] op_sel_hi:[1,0]
	v_pk_fma_f32 v[8:9], s[30:31], v[0:1], v[8:9] neg_lo:[0,0,1] neg_hi:[0,0,1]
	v_pk_fma_f32 v[0:1], s[0:1], v[0:1], v[6:7]
	s_mov_b32 s2, s9
	s_waitcnt vmcnt(0)
	v_pk_mul_f32 v[6:7], s[8:9], v[4:5]
	v_mov_b32_e32 v6, v5
	v_mov_b32_e32 v10, v7
	v_pk_mul_f32 v[6:7], s[8:9], v[6:7]
	v_pk_fma_f32 v[10:11], s[8:9], v[4:5], v[10:11] neg_lo:[0,0,1] neg_hi:[0,0,1]
	v_pk_fma_f32 v[4:5], s[2:3], v[4:5], v[6:7]
	v_pk_add_f32 v[6:7], v[8:9], v[10:11]
	v_pk_add_f32 v[0:1], v[0:1], v[4:5]
	v_mov_b32_e32 v7, v0
	global_store_dwordx2 v[2:3], v[6:7], off
.LBB43_37:
	s_endpgm
	.section	.rodata,"a",@progbits
	.p2align	6, 0x0
	.amdhsa_kernel _ZN9rocsolver6v33100L16mfma_gemm_kernelI19rocblas_complex_numIfElS3_PS3_PKS4_S6_EEv18rocblas_operation_S7_T0_S8_S8_T1_T2_lS8_S8_lT3_lS8_S8_lS9_T4_lS8_S8_l
		.amdhsa_group_segment_fixed_size 20480
		.amdhsa_private_segment_fixed_size 0
		.amdhsa_kernarg_size 424
		.amdhsa_user_sgpr_count 8
		.amdhsa_user_sgpr_private_segment_buffer 1
		.amdhsa_user_sgpr_dispatch_ptr 1
		.amdhsa_user_sgpr_queue_ptr 0
		.amdhsa_user_sgpr_kernarg_segment_ptr 1
		.amdhsa_user_sgpr_dispatch_id 0
		.amdhsa_user_sgpr_flat_scratch_init 0
		.amdhsa_user_sgpr_kernarg_preload_length 0
		.amdhsa_user_sgpr_kernarg_preload_offset 0
		.amdhsa_user_sgpr_private_segment_size 0
		.amdhsa_uses_dynamic_stack 0
		.amdhsa_system_sgpr_private_segment_wavefront_offset 0
		.amdhsa_system_sgpr_workgroup_id_x 1
		.amdhsa_system_sgpr_workgroup_id_y 1
		.amdhsa_system_sgpr_workgroup_id_z 1
		.amdhsa_system_sgpr_workgroup_info 0
		.amdhsa_system_vgpr_workitem_id 2
		.amdhsa_next_free_vgpr 51
		.amdhsa_next_free_sgpr 55
		.amdhsa_accum_offset 52
		.amdhsa_reserve_vcc 1
		.amdhsa_reserve_flat_scratch 0
		.amdhsa_float_round_mode_32 0
		.amdhsa_float_round_mode_16_64 0
		.amdhsa_float_denorm_mode_32 3
		.amdhsa_float_denorm_mode_16_64 3
		.amdhsa_dx10_clamp 1
		.amdhsa_ieee_mode 1
		.amdhsa_fp16_overflow 0
		.amdhsa_tg_split 0
		.amdhsa_exception_fp_ieee_invalid_op 0
		.amdhsa_exception_fp_denorm_src 0
		.amdhsa_exception_fp_ieee_div_zero 0
		.amdhsa_exception_fp_ieee_overflow 0
		.amdhsa_exception_fp_ieee_underflow 0
		.amdhsa_exception_fp_ieee_inexact 0
		.amdhsa_exception_int_div_zero 0
	.end_amdhsa_kernel
	.section	.text._ZN9rocsolver6v33100L16mfma_gemm_kernelI19rocblas_complex_numIfElS3_PS3_PKS4_S6_EEv18rocblas_operation_S7_T0_S8_S8_T1_T2_lS8_S8_lT3_lS8_S8_lS9_T4_lS8_S8_l,"axG",@progbits,_ZN9rocsolver6v33100L16mfma_gemm_kernelI19rocblas_complex_numIfElS3_PS3_PKS4_S6_EEv18rocblas_operation_S7_T0_S8_S8_T1_T2_lS8_S8_lT3_lS8_S8_lS9_T4_lS8_S8_l,comdat
.Lfunc_end43:
	.size	_ZN9rocsolver6v33100L16mfma_gemm_kernelI19rocblas_complex_numIfElS3_PS3_PKS4_S6_EEv18rocblas_operation_S7_T0_S8_S8_T1_T2_lS8_S8_lT3_lS8_S8_lS9_T4_lS8_S8_l, .Lfunc_end43-_ZN9rocsolver6v33100L16mfma_gemm_kernelI19rocblas_complex_numIfElS3_PS3_PKS4_S6_EEv18rocblas_operation_S7_T0_S8_S8_T1_T2_lS8_S8_lT3_lS8_S8_lS9_T4_lS8_S8_l
                                        ; -- End function
	.section	.AMDGPU.csdata,"",@progbits
; Kernel info:
; codeLenInByte = 2680
; NumSgprs: 59
; NumVgprs: 51
; NumAgprs: 0
; TotalNumVgprs: 51
; ScratchSize: 0
; MemoryBound: 0
; FloatMode: 240
; IeeeMode: 1
; LDSByteSize: 20480 bytes/workgroup (compile time only)
; SGPRBlocks: 7
; VGPRBlocks: 6
; NumSGPRsForWavesPerEU: 59
; NumVGPRsForWavesPerEU: 51
; AccumOffset: 52
; Occupancy: 8
; WaveLimiterHint : 1
; COMPUTE_PGM_RSRC2:SCRATCH_EN: 0
; COMPUTE_PGM_RSRC2:USER_SGPR: 8
; COMPUTE_PGM_RSRC2:TRAP_HANDLER: 0
; COMPUTE_PGM_RSRC2:TGID_X_EN: 1
; COMPUTE_PGM_RSRC2:TGID_Y_EN: 1
; COMPUTE_PGM_RSRC2:TGID_Z_EN: 1
; COMPUTE_PGM_RSRC2:TIDIG_COMP_CNT: 2
; COMPUTE_PGM_RSRC3_GFX90A:ACCUM_OFFSET: 12
; COMPUTE_PGM_RSRC3_GFX90A:TG_SPLIT: 0
	.section	.text._ZN9rocsolver6v33100L11gemm_kernelI19rocblas_complex_numIfElPKS3_PS3_PKS6_S8_EEvT0_S9_S9_T1_bT2_lS9_S9_lbT3_lS9_S9_lSA_T4_lS9_S9_l,"axG",@progbits,_ZN9rocsolver6v33100L11gemm_kernelI19rocblas_complex_numIfElPKS3_PS3_PKS6_S8_EEvT0_S9_S9_T1_bT2_lS9_S9_lbT3_lS9_S9_lSA_T4_lS9_S9_l,comdat
	.globl	_ZN9rocsolver6v33100L11gemm_kernelI19rocblas_complex_numIfElPKS3_PS3_PKS6_S8_EEvT0_S9_S9_T1_bT2_lS9_S9_lbT3_lS9_S9_lSA_T4_lS9_S9_l ; -- Begin function _ZN9rocsolver6v33100L11gemm_kernelI19rocblas_complex_numIfElPKS3_PS3_PKS6_S8_EEvT0_S9_S9_T1_bT2_lS9_S9_lbT3_lS9_S9_lSA_T4_lS9_S9_l
	.p2align	8
	.type	_ZN9rocsolver6v33100L11gemm_kernelI19rocblas_complex_numIfElPKS3_PS3_PKS6_S8_EEvT0_S9_S9_T1_bT2_lS9_S9_lbT3_lS9_S9_lSA_T4_lS9_S9_l,@function
_ZN9rocsolver6v33100L11gemm_kernelI19rocblas_complex_numIfElPKS3_PS3_PKS6_S8_EEvT0_S9_S9_T1_bT2_lS9_S9_lbT3_lS9_S9_lSA_T4_lS9_S9_l: ; @_ZN9rocsolver6v33100L11gemm_kernelI19rocblas_complex_numIfElPKS3_PS3_PKS6_S8_EEvT0_S9_S9_T1_bT2_lS9_S9_lbT3_lS9_S9_lSA_T4_lS9_S9_l
; %bb.0:
	s_load_dword s0, s[4:5], 0xbc
	s_load_dwordx8 s[12:19], s[4:5], 0x0
	v_and_b32_e32 v4, 0x3ff, v0
	v_mov_b32_e32 v5, 0
	v_mov_b32_e32 v1, s6
	s_waitcnt lgkmcnt(0)
	s_lshr_b32 s2, s0, 16
	s_and_b32 s0, s0, 0xffff
	v_mad_u64_u32 v[2:3], s[0:1], s0, v1, v[4:5]
	v_bfe_u32 v4, v0, 10, 10
	v_mov_b32_e32 v0, s7
	v_mad_u64_u32 v[0:1], s[0:1], s2, v0, v[4:5]
	v_cmp_gt_i64_e32 vcc, s[12:13], v[2:3]
	v_cmp_gt_i64_e64 s[0:1], s[14:15], v[0:1]
	s_mov_b32 s9, 0
	s_and_b64 s[0:1], vcc, s[0:1]
	s_and_saveexec_b64 s[2:3], s[0:1]
	s_cbranch_execz .LBB44_9
; %bb.1:
	s_load_dwordx8 s[20:27], s[4:5], 0x80
	s_load_dwordx2 s[6:7], s[4:5], 0xa0
	s_load_dwordx2 s[2:3], s[18:19], 0x0
	s_lshl_b64 s[12:13], s[8:9], 3
	v_cmp_lt_i64_e64 s[14:15], s[16:17], 1
	s_waitcnt lgkmcnt(0)
	s_add_u32 s10, s22, s12
	s_addc_u32 s11, s23, s13
	s_load_dwordx2 s[0:1], s[20:21], 0x0
	s_and_b64 vcc, exec, s[14:15]
	s_load_dwordx2 s[10:11], s[10:11], 0x0
	v_mov_b32_e32 v4, 0
	s_cbranch_vccnz .LBB44_8
; %bb.2:
	s_load_dwordx8 s[36:43], s[4:5], 0x58
	s_load_dword s9, s[4:5], 0x20
	s_load_dwordx8 s[44:51], s[4:5], 0x28
	s_load_dwordx2 s[14:15], s[4:5], 0x48
	s_load_dword s20, s[4:5], 0x50
	s_waitcnt lgkmcnt(0)
	s_add_u32 s4, s36, s12
	s_addc_u32 s5, s37, s13
	s_bitcmp1_b32 s9, 0
	s_load_dwordx2 s[18:19], s[4:5], 0x0
	s_cselect_b64 s[4:5], -1, 0
	s_xor_b64 s[4:5], s[4:5], -1
	s_bitcmp1_b32 s20, 0
	s_mul_i32 s9, s15, s8
	s_mul_hi_u32 s15, s14, s8
	s_cselect_b64 s[12:13], -1, 0
	s_add_i32 s9, s15, s9
	s_mul_i32 s8, s14, s8
	s_lshl_b64 s[8:9], s[8:9], 3
	s_lshl_b64 s[14:15], s[46:47], 3
	s_add_u32 s14, s44, s14
	v_mul_lo_u32 v6, s49, v2
	v_mul_lo_u32 v7, s48, v3
	v_mad_u64_u32 v[4:5], s[20:21], s48, v2, 0
	s_addc_u32 s15, s45, s15
	v_add3_u32 v5, v5, v7, v6
	s_add_u32 s8, s14, s8
	v_lshlrev_b64 v[4:5], 3, v[4:5]
	s_addc_u32 s9, s15, s9
	v_mov_b32_e32 v6, s9
	v_add_co_u32_e32 v4, vcc, s8, v4
	v_addc_co_u32_e32 v5, vcc, v6, v5, vcc
	v_add_co_u32_e32 v6, vcc, 4, v4
	v_addc_co_u32_e32 v7, vcc, 0, v5, vcc
	v_mad_u64_u32 v[4:5], s[14:15], s42, v0, 0
	s_lshl_b64 s[8:9], s[50:51], 3
	v_mul_lo_u32 v8, s43, v0
	v_mul_lo_u32 v9, s42, v1
	s_lshl_b64 s[14:15], s[38:39], 3
	v_add3_u32 v5, v5, v9, v8
	s_waitcnt lgkmcnt(0)
	s_add_u32 s14, s18, s14
	v_lshlrev_b64 v[4:5], 3, v[4:5]
	s_addc_u32 s15, s19, s15
	v_mov_b32_e32 v8, s15
	v_add_co_u32_e32 v4, vcc, s14, v4
	v_addc_co_u32_e32 v5, vcc, v8, v5, vcc
	v_add_co_u32_e32 v8, vcc, 4, v4
	s_lshl_b64 s[14:15], s[40:41], 3
	v_addc_co_u32_e32 v9, vcc, 0, v5, vcc
	v_mov_b32_e32 v5, 0
	v_mov_b32_e32 v12, s9
	;; [unrolled: 1-line block ×4, first 2 shown]
	s_branch .LBB44_4
.LBB44_3:                               ;   in Loop: Header=BB44_4 Depth=1
	global_load_dwordx2 v[14:15], v[8:9], off offset:-4
	v_add_co_u32_e32 v6, vcc, s8, v6
	s_add_u32 s16, s16, -1
	v_addc_co_u32_e32 v7, vcc, v7, v12, vcc
	s_addc_u32 s17, s17, -1
	v_add_co_u32_e32 v8, vcc, s14, v8
	s_cmp_eq_u64 s[16:17], 0
	v_addc_co_u32_e32 v9, vcc, v9, v13, vcc
	s_waitcnt vmcnt(0)
	v_cndmask_b32_e64 v15, v15, -v15, s[12:13]
	v_mul_f32_e32 v16, v14, v11
	v_mul_f32_e32 v11, v15, v11
	v_fmac_f32_e32 v16, v15, v10
	v_fma_f32 v10, v14, v10, -v11
	v_add_f32_e32 v5, v5, v16
	v_add_f32_e32 v4, v4, v10
	s_cbranch_scc1 .LBB44_8
.LBB44_4:                               ; =>This Inner Loop Header: Depth=1
	s_and_b64 vcc, exec, s[4:5]
	s_cbranch_vccz .LBB44_6
; %bb.5:                                ;   in Loop: Header=BB44_4 Depth=1
	global_load_dwordx2 v[10:11], v[6:7], off offset:-4
	s_cbranch_execnz .LBB44_3
	s_branch .LBB44_7
.LBB44_6:                               ;   in Loop: Header=BB44_4 Depth=1
                                        ; implicit-def: $vgpr11
.LBB44_7:                               ;   in Loop: Header=BB44_4 Depth=1
	global_load_dwordx2 v[10:11], v[6:7], off offset:-4
	s_waitcnt vmcnt(0)
	v_xor_b32_e32 v11, 0x80000000, v11
	s_branch .LBB44_3
.LBB44_8:
	s_lshl_b64 s[4:5], s[24:25], 3
	s_waitcnt lgkmcnt(0)
	s_add_u32 s8, s10, s4
	s_addc_u32 s9, s11, s5
	v_mul_lo_u32 v6, v3, s26
	v_mul_lo_u32 v7, v2, s27
	v_mad_u64_u32 v[2:3], s[4:5], v2, s26, 0
	v_add3_u32 v3, v3, v7, v6
	v_mul_lo_u32 v6, v1, s6
	v_mul_lo_u32 v7, v0, s7
	v_mad_u64_u32 v[0:1], s[4:5], v0, s6, 0
	v_lshlrev_b64 v[2:3], 3, v[2:3]
	v_add3_u32 v1, v1, v7, v6
	v_mov_b32_e32 v6, s9
	v_add_co_u32_e32 v2, vcc, s8, v2
	v_addc_co_u32_e32 v3, vcc, v6, v3, vcc
	v_lshlrev_b64 v[0:1], 3, v[0:1]
	v_add_co_u32_e32 v0, vcc, v2, v0
	v_addc_co_u32_e32 v1, vcc, v3, v1, vcc
	global_load_dwordx2 v[2:3], v[0:1], off
	v_mul_f32_e32 v6, s3, v5
	v_mul_f32_e32 v5, s2, v5
	v_fma_f32 v6, s2, v4, -v6
	v_fmac_f32_e32 v5, s3, v4
	s_waitcnt vmcnt(0)
	v_mul_f32_e32 v4, s1, v3
	v_mul_f32_e32 v3, s0, v3
	v_fma_f32 v4, s0, v2, -v4
	v_fmac_f32_e32 v3, s1, v2
	v_add_f32_e32 v2, v6, v4
	v_add_f32_e32 v3, v5, v3
	global_store_dwordx2 v[0:1], v[2:3], off
.LBB44_9:
	s_endpgm
	.section	.rodata,"a",@progbits
	.p2align	6, 0x0
	.amdhsa_kernel _ZN9rocsolver6v33100L11gemm_kernelI19rocblas_complex_numIfElPKS3_PS3_PKS6_S8_EEvT0_S9_S9_T1_bT2_lS9_S9_lbT3_lS9_S9_lSA_T4_lS9_S9_l
		.amdhsa_group_segment_fixed_size 0
		.amdhsa_private_segment_fixed_size 0
		.amdhsa_kernarg_size 432
		.amdhsa_user_sgpr_count 6
		.amdhsa_user_sgpr_private_segment_buffer 1
		.amdhsa_user_sgpr_dispatch_ptr 0
		.amdhsa_user_sgpr_queue_ptr 0
		.amdhsa_user_sgpr_kernarg_segment_ptr 1
		.amdhsa_user_sgpr_dispatch_id 0
		.amdhsa_user_sgpr_flat_scratch_init 0
		.amdhsa_user_sgpr_kernarg_preload_length 0
		.amdhsa_user_sgpr_kernarg_preload_offset 0
		.amdhsa_user_sgpr_private_segment_size 0
		.amdhsa_uses_dynamic_stack 0
		.amdhsa_system_sgpr_private_segment_wavefront_offset 0
		.amdhsa_system_sgpr_workgroup_id_x 1
		.amdhsa_system_sgpr_workgroup_id_y 1
		.amdhsa_system_sgpr_workgroup_id_z 1
		.amdhsa_system_sgpr_workgroup_info 0
		.amdhsa_system_vgpr_workitem_id 1
		.amdhsa_next_free_vgpr 17
		.amdhsa_next_free_sgpr 52
		.amdhsa_accum_offset 20
		.amdhsa_reserve_vcc 1
		.amdhsa_reserve_flat_scratch 0
		.amdhsa_float_round_mode_32 0
		.amdhsa_float_round_mode_16_64 0
		.amdhsa_float_denorm_mode_32 3
		.amdhsa_float_denorm_mode_16_64 3
		.amdhsa_dx10_clamp 1
		.amdhsa_ieee_mode 1
		.amdhsa_fp16_overflow 0
		.amdhsa_tg_split 0
		.amdhsa_exception_fp_ieee_invalid_op 0
		.amdhsa_exception_fp_denorm_src 0
		.amdhsa_exception_fp_ieee_div_zero 0
		.amdhsa_exception_fp_ieee_overflow 0
		.amdhsa_exception_fp_ieee_underflow 0
		.amdhsa_exception_fp_ieee_inexact 0
		.amdhsa_exception_int_div_zero 0
	.end_amdhsa_kernel
	.section	.text._ZN9rocsolver6v33100L11gemm_kernelI19rocblas_complex_numIfElPKS3_PS3_PKS6_S8_EEvT0_S9_S9_T1_bT2_lS9_S9_lbT3_lS9_S9_lSA_T4_lS9_S9_l,"axG",@progbits,_ZN9rocsolver6v33100L11gemm_kernelI19rocblas_complex_numIfElPKS3_PS3_PKS6_S8_EEvT0_S9_S9_T1_bT2_lS9_S9_lbT3_lS9_S9_lSA_T4_lS9_S9_l,comdat
.Lfunc_end44:
	.size	_ZN9rocsolver6v33100L11gemm_kernelI19rocblas_complex_numIfElPKS3_PS3_PKS6_S8_EEvT0_S9_S9_T1_bT2_lS9_S9_lbT3_lS9_S9_lSA_T4_lS9_S9_l, .Lfunc_end44-_ZN9rocsolver6v33100L11gemm_kernelI19rocblas_complex_numIfElPKS3_PS3_PKS6_S8_EEvT0_S9_S9_T1_bT2_lS9_S9_lbT3_lS9_S9_lSA_T4_lS9_S9_l
                                        ; -- End function
	.section	.AMDGPU.csdata,"",@progbits
; Kernel info:
; codeLenInByte = 780
; NumSgprs: 56
; NumVgprs: 17
; NumAgprs: 0
; TotalNumVgprs: 17
; ScratchSize: 0
; MemoryBound: 0
; FloatMode: 240
; IeeeMode: 1
; LDSByteSize: 0 bytes/workgroup (compile time only)
; SGPRBlocks: 6
; VGPRBlocks: 2
; NumSGPRsForWavesPerEU: 56
; NumVGPRsForWavesPerEU: 17
; AccumOffset: 20
; Occupancy: 8
; WaveLimiterHint : 1
; COMPUTE_PGM_RSRC2:SCRATCH_EN: 0
; COMPUTE_PGM_RSRC2:USER_SGPR: 6
; COMPUTE_PGM_RSRC2:TRAP_HANDLER: 0
; COMPUTE_PGM_RSRC2:TGID_X_EN: 1
; COMPUTE_PGM_RSRC2:TGID_Y_EN: 1
; COMPUTE_PGM_RSRC2:TGID_Z_EN: 1
; COMPUTE_PGM_RSRC2:TIDIG_COMP_CNT: 1
; COMPUTE_PGM_RSRC3_GFX90A:ACCUM_OFFSET: 4
; COMPUTE_PGM_RSRC3_GFX90A:TG_SPLIT: 0
	.section	.text._ZN9rocsolver6v33100L11gemm_kernelI19rocblas_complex_numIfElS3_PS3_PKS4_S6_EEvT0_S7_S7_T1_bT2_lS7_S7_lbT3_lS7_S7_lS8_T4_lS7_S7_l,"axG",@progbits,_ZN9rocsolver6v33100L11gemm_kernelI19rocblas_complex_numIfElS3_PS3_PKS4_S6_EEvT0_S7_S7_T1_bT2_lS7_S7_lbT3_lS7_S7_lS8_T4_lS7_S7_l,comdat
	.globl	_ZN9rocsolver6v33100L11gemm_kernelI19rocblas_complex_numIfElS3_PS3_PKS4_S6_EEvT0_S7_S7_T1_bT2_lS7_S7_lbT3_lS7_S7_lS8_T4_lS7_S7_l ; -- Begin function _ZN9rocsolver6v33100L11gemm_kernelI19rocblas_complex_numIfElS3_PS3_PKS4_S6_EEvT0_S7_S7_T1_bT2_lS7_S7_lbT3_lS7_S7_lS8_T4_lS7_S7_l
	.p2align	8
	.type	_ZN9rocsolver6v33100L11gemm_kernelI19rocblas_complex_numIfElS3_PS3_PKS4_S6_EEvT0_S7_S7_T1_bT2_lS7_S7_lbT3_lS7_S7_lS8_T4_lS7_S7_l,@function
_ZN9rocsolver6v33100L11gemm_kernelI19rocblas_complex_numIfElS3_PS3_PKS4_S6_EEvT0_S7_S7_T1_bT2_lS7_S7_lbT3_lS7_S7_lS8_T4_lS7_S7_l: ; @_ZN9rocsolver6v33100L11gemm_kernelI19rocblas_complex_numIfElS3_PS3_PKS4_S6_EEvT0_S7_S7_T1_bT2_lS7_S7_lbT3_lS7_S7_lS8_T4_lS7_S7_l
; %bb.0:
	s_load_dword s10, s[4:5], 0xbc
	s_load_dwordx4 s[0:3], s[4:5], 0x0
	v_and_b32_e32 v4, 0x3ff, v0
	v_mov_b32_e32 v5, 0
	v_mov_b32_e32 v1, s6
	s_waitcnt lgkmcnt(0)
	s_lshr_b32 s12, s10, 16
	s_and_b32 s10, s10, 0xffff
	v_mad_u64_u32 v[2:3], s[10:11], s10, v1, v[4:5]
	v_bfe_u32 v4, v0, 10, 10
	v_mov_b32_e32 v0, s7
	v_mad_u64_u32 v[0:1], s[6:7], s12, v0, v[4:5]
	v_cmp_gt_i64_e32 vcc, s[0:1], v[2:3]
	v_cmp_gt_i64_e64 s[0:1], s[2:3], v[0:1]
	s_mov_b32 s9, 0
	s_and_b64 s[0:1], vcc, s[0:1]
	s_and_saveexec_b64 s[2:3], s[0:1]
	s_cbranch_execz .LBB45_9
; %bb.1:
	s_load_dwordx8 s[12:19], s[4:5], 0x88
	s_load_dwordx2 s[28:29], s[4:5], 0x10
	s_load_dwordx4 s[0:3], s[4:5], 0x18
	s_load_dwordx2 s[6:7], s[4:5], 0x80
	s_lshl_b64 s[30:31], s[8:9], 3
	s_waitcnt lgkmcnt(0)
	s_add_u32 s10, s12, s30
	s_addc_u32 s11, s13, s31
	s_load_dwordx2 s[10:11], s[10:11], 0x0
	v_cmp_lt_i64_e64 s[12:13], s[28:29], 1
	s_and_b64 vcc, exec, s[12:13]
	v_mov_b32_e32 v4, 0
	s_cbranch_vccnz .LBB45_8
; %bb.2:
	s_load_dwordx8 s[20:27], s[4:5], 0x58
	s_load_dwordx8 s[36:43], s[4:5], 0x28
	s_load_dwordx2 s[12:13], s[4:5], 0x48
	s_load_dword s9, s[4:5], 0x50
	s_waitcnt lgkmcnt(0)
	s_add_u32 s4, s20, s30
	s_addc_u32 s5, s21, s31
	s_bitcmp1_b32 s2, 0
	s_cselect_b64 s[2:3], -1, 0
	s_xor_b64 s[2:3], s[2:3], -1
	s_bitcmp1_b32 s9, 0
	s_mul_i32 s9, s13, s8
	s_mul_hi_u32 s13, s12, s8
	s_load_dwordx2 s[20:21], s[4:5], 0x0
	s_cselect_b64 s[4:5], -1, 0
	s_add_i32 s9, s13, s9
	s_mul_i32 s8, s12, s8
	s_lshl_b64 s[8:9], s[8:9], 3
	s_lshl_b64 s[12:13], s[38:39], 3
	s_add_u32 s12, s36, s12
	v_mul_lo_u32 v6, s41, v2
	v_mul_lo_u32 v7, s40, v3
	v_mad_u64_u32 v[4:5], s[30:31], s40, v2, 0
	s_addc_u32 s13, s37, s13
	v_add3_u32 v5, v5, v7, v6
	s_add_u32 s8, s12, s8
	v_lshlrev_b64 v[4:5], 3, v[4:5]
	s_addc_u32 s9, s13, s9
	v_mov_b32_e32 v6, s9
	v_add_co_u32_e32 v4, vcc, s8, v4
	v_addc_co_u32_e32 v5, vcc, v6, v5, vcc
	v_add_co_u32_e32 v6, vcc, 4, v4
	v_addc_co_u32_e32 v7, vcc, 0, v5, vcc
	v_mad_u64_u32 v[4:5], s[12:13], s26, v0, 0
	s_lshl_b64 s[8:9], s[42:43], 3
	v_mul_lo_u32 v8, s27, v0
	v_mul_lo_u32 v9, s26, v1
	s_lshl_b64 s[12:13], s[22:23], 3
	v_add3_u32 v5, v5, v9, v8
	s_waitcnt lgkmcnt(0)
	s_add_u32 s12, s20, s12
	v_lshlrev_b64 v[4:5], 3, v[4:5]
	s_addc_u32 s13, s21, s13
	v_mov_b32_e32 v8, s13
	v_add_co_u32_e32 v4, vcc, s12, v4
	v_addc_co_u32_e32 v5, vcc, v8, v5, vcc
	v_add_co_u32_e32 v8, vcc, 4, v4
	s_lshl_b64 s[12:13], s[24:25], 3
	v_addc_co_u32_e32 v9, vcc, 0, v5, vcc
	v_mov_b32_e32 v5, 0
	v_mov_b32_e32 v12, s9
	;; [unrolled: 1-line block ×4, first 2 shown]
	s_branch .LBB45_4
.LBB45_3:                               ;   in Loop: Header=BB45_4 Depth=1
	global_load_dwordx2 v[14:15], v[8:9], off offset:-4
	v_add_co_u32_e32 v6, vcc, s8, v6
	s_add_u32 s28, s28, -1
	v_addc_co_u32_e32 v7, vcc, v7, v12, vcc
	s_addc_u32 s29, s29, -1
	v_add_co_u32_e32 v8, vcc, s12, v8
	s_cmp_eq_u64 s[28:29], 0
	v_addc_co_u32_e32 v9, vcc, v9, v13, vcc
	s_waitcnt vmcnt(0)
	v_cndmask_b32_e64 v15, v15, -v15, s[4:5]
	v_mul_f32_e32 v16, v14, v11
	v_mul_f32_e32 v11, v15, v11
	v_fmac_f32_e32 v16, v15, v10
	v_fma_f32 v10, v14, v10, -v11
	v_add_f32_e32 v5, v5, v16
	v_add_f32_e32 v4, v4, v10
	s_cbranch_scc1 .LBB45_8
.LBB45_4:                               ; =>This Inner Loop Header: Depth=1
	s_and_b64 vcc, exec, s[2:3]
	s_cbranch_vccz .LBB45_6
; %bb.5:                                ;   in Loop: Header=BB45_4 Depth=1
	global_load_dwordx2 v[10:11], v[6:7], off offset:-4
	s_cbranch_execnz .LBB45_3
	s_branch .LBB45_7
.LBB45_6:                               ;   in Loop: Header=BB45_4 Depth=1
                                        ; implicit-def: $vgpr11
.LBB45_7:                               ;   in Loop: Header=BB45_4 Depth=1
	global_load_dwordx2 v[10:11], v[6:7], off offset:-4
	s_waitcnt vmcnt(0)
	v_xor_b32_e32 v11, 0x80000000, v11
	s_branch .LBB45_3
.LBB45_8:
	s_lshl_b64 s[2:3], s[14:15], 3
	s_waitcnt lgkmcnt(0)
	s_add_u32 s4, s10, s2
	s_addc_u32 s5, s11, s3
	v_mul_lo_u32 v6, v3, s16
	v_mul_lo_u32 v7, v2, s17
	v_mad_u64_u32 v[2:3], s[2:3], v2, s16, 0
	v_add3_u32 v3, v3, v7, v6
	v_mul_lo_u32 v6, v1, s18
	v_mul_lo_u32 v7, v0, s19
	v_mad_u64_u32 v[0:1], s[2:3], v0, s18, 0
	v_lshlrev_b64 v[2:3], 3, v[2:3]
	v_add3_u32 v1, v1, v7, v6
	v_mov_b32_e32 v6, s5
	v_add_co_u32_e32 v2, vcc, s4, v2
	v_addc_co_u32_e32 v3, vcc, v6, v3, vcc
	v_lshlrev_b64 v[0:1], 3, v[0:1]
	v_add_co_u32_e32 v0, vcc, v2, v0
	v_addc_co_u32_e32 v1, vcc, v3, v1, vcc
	global_load_dwordx2 v[2:3], v[0:1], off
	v_mul_f32_e32 v6, s1, v5
	v_mul_f32_e32 v5, s0, v5
	v_fma_f32 v6, s0, v4, -v6
	v_fmac_f32_e32 v5, s1, v4
	s_waitcnt vmcnt(0)
	v_mul_f32_e32 v4, s7, v3
	v_mul_f32_e32 v3, s6, v3
	v_fma_f32 v4, s6, v2, -v4
	v_fmac_f32_e32 v3, s7, v2
	v_add_f32_e32 v2, v6, v4
	v_add_f32_e32 v3, v5, v3
	global_store_dwordx2 v[0:1], v[2:3], off
.LBB45_9:
	s_endpgm
	.section	.rodata,"a",@progbits
	.p2align	6, 0x0
	.amdhsa_kernel _ZN9rocsolver6v33100L11gemm_kernelI19rocblas_complex_numIfElS3_PS3_PKS4_S6_EEvT0_S7_S7_T1_bT2_lS7_S7_lbT3_lS7_S7_lS8_T4_lS7_S7_l
		.amdhsa_group_segment_fixed_size 0
		.amdhsa_private_segment_fixed_size 0
		.amdhsa_kernarg_size 432
		.amdhsa_user_sgpr_count 6
		.amdhsa_user_sgpr_private_segment_buffer 1
		.amdhsa_user_sgpr_dispatch_ptr 0
		.amdhsa_user_sgpr_queue_ptr 0
		.amdhsa_user_sgpr_kernarg_segment_ptr 1
		.amdhsa_user_sgpr_dispatch_id 0
		.amdhsa_user_sgpr_flat_scratch_init 0
		.amdhsa_user_sgpr_kernarg_preload_length 0
		.amdhsa_user_sgpr_kernarg_preload_offset 0
		.amdhsa_user_sgpr_private_segment_size 0
		.amdhsa_uses_dynamic_stack 0
		.amdhsa_system_sgpr_private_segment_wavefront_offset 0
		.amdhsa_system_sgpr_workgroup_id_x 1
		.amdhsa_system_sgpr_workgroup_id_y 1
		.amdhsa_system_sgpr_workgroup_id_z 1
		.amdhsa_system_sgpr_workgroup_info 0
		.amdhsa_system_vgpr_workitem_id 1
		.amdhsa_next_free_vgpr 17
		.amdhsa_next_free_sgpr 44
		.amdhsa_accum_offset 20
		.amdhsa_reserve_vcc 1
		.amdhsa_reserve_flat_scratch 0
		.amdhsa_float_round_mode_32 0
		.amdhsa_float_round_mode_16_64 0
		.amdhsa_float_denorm_mode_32 3
		.amdhsa_float_denorm_mode_16_64 3
		.amdhsa_dx10_clamp 1
		.amdhsa_ieee_mode 1
		.amdhsa_fp16_overflow 0
		.amdhsa_tg_split 0
		.amdhsa_exception_fp_ieee_invalid_op 0
		.amdhsa_exception_fp_denorm_src 0
		.amdhsa_exception_fp_ieee_div_zero 0
		.amdhsa_exception_fp_ieee_overflow 0
		.amdhsa_exception_fp_ieee_underflow 0
		.amdhsa_exception_fp_ieee_inexact 0
		.amdhsa_exception_int_div_zero 0
	.end_amdhsa_kernel
	.section	.text._ZN9rocsolver6v33100L11gemm_kernelI19rocblas_complex_numIfElS3_PS3_PKS4_S6_EEvT0_S7_S7_T1_bT2_lS7_S7_lbT3_lS7_S7_lS8_T4_lS7_S7_l,"axG",@progbits,_ZN9rocsolver6v33100L11gemm_kernelI19rocblas_complex_numIfElS3_PS3_PKS4_S6_EEvT0_S7_S7_T1_bT2_lS7_S7_lbT3_lS7_S7_lS8_T4_lS7_S7_l,comdat
.Lfunc_end45:
	.size	_ZN9rocsolver6v33100L11gemm_kernelI19rocblas_complex_numIfElS3_PS3_PKS4_S6_EEvT0_S7_S7_T1_bT2_lS7_S7_lbT3_lS7_S7_lS8_T4_lS7_S7_l, .Lfunc_end45-_ZN9rocsolver6v33100L11gemm_kernelI19rocblas_complex_numIfElS3_PS3_PKS4_S6_EEvT0_S7_S7_T1_bT2_lS7_S7_lbT3_lS7_S7_lS8_T4_lS7_S7_l
                                        ; -- End function
	.section	.AMDGPU.csdata,"",@progbits
; Kernel info:
; codeLenInByte = 772
; NumSgprs: 48
; NumVgprs: 17
; NumAgprs: 0
; TotalNumVgprs: 17
; ScratchSize: 0
; MemoryBound: 0
; FloatMode: 240
; IeeeMode: 1
; LDSByteSize: 0 bytes/workgroup (compile time only)
; SGPRBlocks: 5
; VGPRBlocks: 2
; NumSGPRsForWavesPerEU: 48
; NumVGPRsForWavesPerEU: 17
; AccumOffset: 20
; Occupancy: 8
; WaveLimiterHint : 1
; COMPUTE_PGM_RSRC2:SCRATCH_EN: 0
; COMPUTE_PGM_RSRC2:USER_SGPR: 6
; COMPUTE_PGM_RSRC2:TRAP_HANDLER: 0
; COMPUTE_PGM_RSRC2:TGID_X_EN: 1
; COMPUTE_PGM_RSRC2:TGID_Y_EN: 1
; COMPUTE_PGM_RSRC2:TGID_Z_EN: 1
; COMPUTE_PGM_RSRC2:TIDIG_COMP_CNT: 1
; COMPUTE_PGM_RSRC3_GFX90A:ACCUM_OFFSET: 4
; COMPUTE_PGM_RSRC3_GFX90A:TG_SPLIT: 0
	.section	.text._ZN9rocsolver6v33100L16mfma_gemm_kernelI19rocblas_complex_numIfElPKS3_PKPS3_S6_S8_EEv18rocblas_operation_S9_T0_SA_SA_T1_T2_lSA_SA_lT3_lSA_SA_lSB_T4_lSA_SA_l,"axG",@progbits,_ZN9rocsolver6v33100L16mfma_gemm_kernelI19rocblas_complex_numIfElPKS3_PKPS3_S6_S8_EEv18rocblas_operation_S9_T0_SA_SA_T1_T2_lSA_SA_lT3_lSA_SA_lSB_T4_lSA_SA_l,comdat
	.globl	_ZN9rocsolver6v33100L16mfma_gemm_kernelI19rocblas_complex_numIfElPKS3_PKPS3_S6_S8_EEv18rocblas_operation_S9_T0_SA_SA_T1_T2_lSA_SA_lT3_lSA_SA_lSB_T4_lSA_SA_l ; -- Begin function _ZN9rocsolver6v33100L16mfma_gemm_kernelI19rocblas_complex_numIfElPKS3_PKPS3_S6_S8_EEv18rocblas_operation_S9_T0_SA_SA_T1_T2_lSA_SA_lT3_lSA_SA_lSB_T4_lSA_SA_l
	.p2align	8
	.type	_ZN9rocsolver6v33100L16mfma_gemm_kernelI19rocblas_complex_numIfElPKS3_PKPS3_S6_S8_EEv18rocblas_operation_S9_T0_SA_SA_T1_T2_lSA_SA_lT3_lSA_SA_lSB_T4_lSA_SA_l,@function
_ZN9rocsolver6v33100L16mfma_gemm_kernelI19rocblas_complex_numIfElPKS3_PKPS3_S6_S8_EEv18rocblas_operation_S9_T0_SA_SA_T1_T2_lSA_SA_lT3_lSA_SA_lSB_T4_lSA_SA_l: ; @_ZN9rocsolver6v33100L16mfma_gemm_kernelI19rocblas_complex_numIfElPKS3_PKPS3_S6_S8_EEv18rocblas_operation_S9_T0_SA_SA_T1_T2_lSA_SA_lT3_lSA_SA_lSB_T4_lSA_SA_l
; %bb.0:
	s_load_dword s0, s[6:7], 0xb4
	s_load_dwordx16 s[12:27], s[6:7], 0x8
	v_and_b32_e32 v1, 0x3ff, v0
	v_lshrrev_b32_e32 v2, 6, v1
	v_mov_b32_e32 v3, 0
	s_waitcnt lgkmcnt(0)
	s_lshr_b32 s2, s0, 16
	s_bfe_u32 s0, s0, 0xa0006
	v_mov_b32_e32 v4, s8
	v_bfe_u32 v8, v0, 10, 10
	v_mov_b32_e32 v9, v3
	v_mad_u64_u32 v[16:17], s[0:1], s0, v4, v[2:3]
	v_mov_b32_e32 v2, s9
	v_mad_u64_u32 v[20:21], s[0:1], s2, v2, v[8:9]
	v_lshlrev_b64 v[4:5], 4, v[16:17]
	v_lshlrev_b64 v[6:7], 4, v[20:21]
	v_cmp_gt_i64_e32 vcc, s[12:13], v[4:5]
	v_cmp_gt_i64_e64 s[0:1], s[14:15], v[6:7]
	s_mov_b32 s11, 0
	s_and_b64 s[0:1], vcc, s[0:1]
	s_and_saveexec_b64 s[2:3], s[0:1]
	s_cbranch_execz .LBB46_37
; %bb.1:
	s_load_dwordx2 s[0:1], s[4:5], 0x4
	s_load_dwordx16 s[36:51], s[6:7], 0x50
	v_bfe_u32 v0, v0, 20, 10
	s_lshl_b64 s[2:3], s[10:11], 3
	v_bfe_u32 v10, v1, 2, 4
	s_waitcnt lgkmcnt(0)
	s_lshr_b32 s0, s0, 16
	s_mul_i32 s0, s0, s1
	v_mul_u32_u24_e32 v2, s1, v8
	v_mul_lo_u32 v8, s0, v1
	v_add3_u32 v0, v8, v2, v0
	v_add_co_u32_e32 v8, vcc, 16, v4
	v_addc_co_u32_e32 v9, vcc, 0, v5, vcc
	s_and_b32 s0, s12, 15
	v_mul_lo_u32 v30, v0, 20
	v_mov_b32_e32 v0, s0
	v_cmp_lt_u64_e32 vcc, s[12:13], v[8:9]
	s_and_b32 s0, s14, 15
	v_cndmask_b32_e32 v2, 16, v0, vcc
	v_add_co_u32_e32 v8, vcc, 16, v6
	v_mov_b32_e32 v0, s0
	s_add_u32 s0, s48, s2
	v_addc_co_u32_e32 v9, vcc, 0, v7, vcc
	s_addc_u32 s1, s49, s3
	v_cmp_lt_u64_e32 vcc, s[14:15], v[8:9]
	s_load_dwordx2 s[14:15], s[18:19], 0x0
	s_load_dwordx2 s[12:13], s[46:47], 0x0
	v_cndmask_b32_e32 v8, 16, v0, vcc
	s_load_dwordx2 s[18:19], s[0:1], 0x0
	v_mov_b32_e32 v9, v3
	v_mov_b32_e32 v11, v3
	v_cmp_lt_i64_e64 s[0:1], s[16:17], 1
	v_and_b32_e32 v15, 63, v1
	v_and_b32_e32 v28, 3, v1
	s_and_b64 vcc, exec, s[0:1]
	v_cmp_lt_u64_e64 s[0:1], v[10:11], v[8:9]
	v_mbcnt_lo_u32_b32 v29, -1, 0
	v_mov_b32_e32 v13, v3
	v_mov_b32_e32 v0, v3
	;; [unrolled: 1-line block ×8, first 2 shown]
	ds_write2_b32 v30, v3, v3 offset0:2 offset1:3
	ds_write2_b32 v30, v3, v3 offset1:1
	ds_write_b32 v30, v3 offset:16
	s_cbranch_vccnz .LBB46_29
; %bb.2:
	s_load_dwordx2 s[34:35], s[6:7], 0x0
	s_add_u32 s2, s20, s2
	s_addc_u32 s3, s21, s3
	v_lshrrev_b32_e32 v14, 4, v15
	v_and_b32_e32 v0, 15, v15
	s_waitcnt lgkmcnt(0)
	s_cmpk_lg_i32 s34, 0x6f
	s_cselect_b64 s[20:21], -1, 0
	s_cmpk_lg_i32 s35, 0x6f
	s_cselect_b64 s[28:29], -1, 0
	s_cmpk_eq_i32 s35, 0x6f
	s_cselect_b32 s11, s42, s40
	s_cselect_b32 s33, s43, s41
	s_cmpk_eq_i32 s34, 0x6f
	s_cselect_b32 s48, s24, s26
	s_cselect_b32 s49, s25, s27
	v_mul_lo_u32 v18, s49, v16
	v_mul_lo_u32 v17, s48, v17
	v_mad_u64_u32 v[12:13], s[48:49], s48, v16, 0
	v_add3_u32 v13, v13, v17, v18
	v_mad_u64_u32 v[16:17], s[48:49], s26, v14, 0
	v_mov_b32_e32 v18, v17
	v_mad_u64_u32 v[18:19], s[48:49], s27, v14, v[18:19]
	v_mov_b32_e32 v17, v18
	v_lshlrev_b64 v[12:13], 7, v[12:13]
	v_lshlrev_b64 v[16:17], 3, v[16:17]
	v_add_co_u32_e32 v22, vcc, v12, v16
	s_load_dwordx2 s[46:47], s[2:3], 0x0
	v_addc_co_u32_e32 v23, vcc, v13, v17, vcc
	v_mad_u64_u32 v[16:17], s[48:49], s24, v0, 0
	v_mov_b32_e32 v18, v17
	s_cmpk_eq_i32 s34, 0x71
	v_mad_u64_u32 v[18:19], s[48:49], s25, v0, v[18:19]
	s_cselect_b64 s[30:31], -1, 0
	s_cmpk_eq_i32 s35, 0x71
	v_mov_b32_e32 v17, v18
	s_cselect_b64 s[34:35], -1, 0
	v_lshlrev_b64 v[16:17], 3, v[16:17]
	s_lshl_b64 s[22:23], s[22:23], 3
	v_add_co_u32_e32 v16, vcc, v22, v16
	s_waitcnt lgkmcnt(0)
	s_add_u32 s48, s46, s22
	v_addc_co_u32_e32 v17, vcc, v23, v17, vcc
	s_addc_u32 s49, s47, s23
	v_mov_b32_e32 v18, s49
	v_add_co_u32_e32 v16, vcc, s48, v16
	v_addc_co_u32_e32 v17, vcc, v18, v17, vcc
	v_mad_u64_u32 v[18:19], s[46:47], s26, v10, 0
	v_mov_b32_e32 v22, v19
	s_lshl_b64 s[22:23], s[26:27], 5
	v_mad_u64_u32 v[22:23], s[26:27], s27, v10, v[22:23]
	v_mov_b32_e32 v19, v22
	v_lshlrev_b64 v[18:19], 3, v[18:19]
	v_add_co_u32_e32 v22, vcc, v12, v18
	v_addc_co_u32_e32 v23, vcc, v13, v19, vcc
	v_mad_u64_u32 v[12:13], s[26:27], s24, v28, 0
	v_mov_b32_e32 v18, v13
	v_mad_u64_u32 v[18:19], s[26:27], s25, v28, v[18:19]
	v_mov_b32_e32 v13, v18
	v_lshlrev_b64 v[12:13], 3, v[12:13]
	v_add_co_u32_e32 v12, vcc, v22, v12
	v_addc_co_u32_e32 v13, vcc, v23, v13, vcc
	v_mov_b32_e32 v19, s49
	v_add_co_u32_e32 v18, vcc, s48, v12
	v_addc_co_u32_e32 v19, vcc, v19, v13, vcc
	v_mul_lo_u32 v22, s33, v20
	v_mul_lo_u32 v21, s11, v21
	v_mad_u64_u32 v[12:13], s[26:27], s11, v20, 0
	v_add3_u32 v13, v13, v21, v22
	v_mad_u64_u32 v[20:21], s[26:27], s42, v10, 0
	v_mov_b32_e32 v22, v21
	v_mad_u64_u32 v[22:23], s[26:27], s43, v10, v[22:23]
	v_mov_b32_e32 v21, v22
	v_lshlrev_b64 v[12:13], 7, v[12:13]
	v_lshlrev_b64 v[20:21], 3, v[20:21]
	s_mul_i32 s11, s45, s10
	s_mul_hi_u32 s26, s44, s10
	v_add_co_u32_e32 v20, vcc, v12, v20
	s_add_i32 s11, s26, s11
	s_mul_i32 s10, s44, s10
	v_addc_co_u32_e32 v21, vcc, v13, v21, vcc
	s_lshl_b64 s[26:27], s[10:11], 3
	v_mov_b32_e32 v27, s27
	v_add_co_u32_e32 v24, vcc, s26, v20
	v_addc_co_u32_e32 v25, vcc, v21, v27, vcc
	v_mad_u64_u32 v[20:21], s[10:11], s40, v28, 0
	v_mov_b32_e32 v22, v21
	v_mad_u64_u32 v[22:23], s[10:11], s41, v28, v[22:23]
	v_mov_b32_e32 v21, v22
	s_lshl_b64 s[24:25], s[24:25], 5
	v_lshlrev_b64 v[20:21], 3, v[20:21]
	s_lshl_b64 s[10:11], s[38:39], 3
	v_add_co_u32_e32 v20, vcc, v24, v20
	s_add_u32 s33, s36, s10
	v_addc_co_u32_e32 v21, vcc, v25, v21, vcc
	s_addc_u32 s38, s37, s11
	v_mov_b32_e32 v22, s38
	v_add_co_u32_e32 v20, vcc, s33, v20
	v_addc_co_u32_e32 v21, vcc, v22, v21, vcc
	v_mad_u64_u32 v[22:23], s[36:37], s42, v14, 0
	v_mov_b32_e32 v24, v23
	v_mad_u64_u32 v[24:25], s[36:37], s43, v14, v[24:25]
	v_mov_b32_e32 v23, v24
	v_lshlrev_b64 v[22:23], 3, v[22:23]
	v_add_co_u32_e32 v12, vcc, v12, v22
	v_addc_co_u32_e32 v13, vcc, v13, v23, vcc
	v_add_co_u32_e32 v24, vcc, s26, v12
	v_addc_co_u32_e32 v25, vcc, v13, v27, vcc
	v_mad_u64_u32 v[12:13], s[26:27], s40, v0, 0
	v_mov_b32_e32 v22, v13
	v_mad_u64_u32 v[22:23], s[26:27], s41, v0, v[22:23]
	v_mov_b32_e32 v13, v22
	v_mov_b32_e32 v1, 0
	v_lshlrev_b64 v[12:13], 3, v[12:13]
	v_lshl_or_b32 v26, v0, 2, v14
	v_cmp_lt_u64_e64 s[4:5], v[0:1], v[2:3]
	v_cmp_lt_u64_e64 s[8:9], v[0:1], v[8:9]
	v_add_co_u32_e32 v0, vcc, v24, v12
	v_addc_co_u32_e32 v12, vcc, v25, v13, vcc
	v_add_co_u32_e32 v22, vcc, s33, v0
	v_mbcnt_hi_u32_b32 v0, -1, v29
	v_mov_b32_e32 v13, s38
	v_and_or_b32 v0, v0, 64, v26
	v_cmp_lt_u64_e64 s[2:3], v[10:11], v[2:3]
	s_lshl_b64 s[10:11], s[40:41], 5
	v_addc_co_u32_e32 v23, vcc, v13, v12, vcc
	s_lshl_b64 s[26:27], s[42:43], 5
	s_mov_b64 s[36:37], 0
	v_lshlrev_b32_e32 v31, 2, v0
	v_mov_b32_e32 v12, v1
	v_mov_b32_e32 v0, v1
	;; [unrolled: 1-line block ×3, first 2 shown]
	s_branch .LBB46_6
.LBB46_3:                               ;   in Loop: Header=BB46_6 Depth=1
	s_or_b64 exec, exec, s[40:41]
.LBB46_4:                               ;   in Loop: Header=BB46_6 Depth=1
	s_or_b64 exec, exec, s[38:39]
	s_waitcnt vmcnt(0)
	ds_bpermute_b32 v26, v31, v26
	ds_bpermute_b32 v27, v31, v27
.LBB46_5:                               ;   in Loop: Header=BB46_6 Depth=1
	s_waitcnt vmcnt(0) lgkmcnt(0)
	v_cndmask_b32_e64 v50, v25, -v25, s[30:31]
	v_cndmask_b32_e64 v27, v27, -v27, s[34:35]
	v_mfma_f32_16x16x4f32 v[32:35], v24, v26, 0
	v_add_co_u32_e32 v16, vcc, s22, v16
	s_add_u32 s36, s36, 4
	s_addc_u32 s37, s37, 0
	v_mfma_f32_16x16x4f32 v[40:43], v50, v27, 0
	v_mfma_f32_16x16x4f32 v[36:39], v24, v27, 0
	ds_read2_b32 v[24:25], v30 offset1:1
	ds_read2_b32 v[44:45], v30 offset0:3 offset1:4
	ds_read2_b32 v[46:47], v30 offset0:2 offset1:3
	;; [unrolled: 1-line block ×3, first 2 shown]
	s_nop 5
	v_sub_f32_e32 v35, v35, v43
	v_sub_f32_e32 v34, v34, v42
	;; [unrolled: 1-line block ×4, first 2 shown]
	s_waitcnt lgkmcnt(1)
	v_mov_b32_e32 v25, v46
	v_pk_add_f32 v[24:25], v[24:25], v[32:33]
	v_pk_add_f32 v[12:13], v[12:13], v[34:35]
	v_mfma_f32_16x16x4f32 v[32:35], v50, v26, 0
	s_waitcnt lgkmcnt(0)
	v_mov_b32_e32 v49, v44
	s_nop 7
	s_nop 0
	v_pk_add_f32 v[26:27], v[38:39], v[34:35]
	v_pk_add_f32 v[32:33], v[36:37], v[32:33]
	;; [unrolled: 1-line block ×4, first 2 shown]
	ds_write2_b32 v30, v24, v26 offset1:1
	ds_write2_b32 v30, v25, v27 offset0:2 offset1:3
	ds_write_b32 v30, v12 offset:16
	v_mov_b32_e32 v24, s23
	v_addc_co_u32_e32 v17, vcc, v17, v24, vcc
	v_mov_b32_e32 v24, s25
	v_add_co_u32_e32 v18, vcc, s24, v18
	v_addc_co_u32_e32 v19, vcc, v19, v24, vcc
	v_mov_b32_e32 v24, s11
	v_add_co_u32_e32 v20, vcc, s10, v20
	v_addc_co_u32_e32 v21, vcc, v21, v24, vcc
	v_mov_b32_e32 v24, s27
	v_add_co_u32_e32 v22, vcc, s26, v22
	v_addc_co_u32_e32 v23, vcc, v23, v24, vcc
	v_pk_mov_b32 v[32:33], s[16:17], s[16:17] op_sel:[0,1]
	v_cmp_ge_i64_e32 vcc, s[36:37], v[32:33]
	s_cbranch_vccnz .LBB46_28
.LBB46_6:                               ; =>This Inner Loop Header: Depth=1
	s_and_b64 vcc, exec, s[20:21]
	s_cbranch_vccz .LBB46_18
; %bb.7:                                ;   in Loop: Header=BB46_6 Depth=1
	v_mov_b32_e32 v24, 0
	v_mov_b32_e32 v25, 0
	s_and_saveexec_b64 s[38:39], s[2:3]
	s_cbranch_execz .LBB46_11
; %bb.8:                                ;   in Loop: Header=BB46_6 Depth=1
	v_mov_b32_e32 v25, s37
	v_add_co_u32_e32 v24, vcc, s36, v28
	v_addc_co_u32_e32 v25, vcc, 0, v25, vcc
	v_cmp_gt_i64_e32 vcc, s[16:17], v[24:25]
	v_mov_b32_e32 v25, 0
	v_mov_b32_e32 v24, 0
	s_and_saveexec_b64 s[40:41], vcc
	s_cbranch_execz .LBB46_10
; %bb.9:                                ;   in Loop: Header=BB46_6 Depth=1
	global_load_dwordx2 v[24:25], v[18:19], off
.LBB46_10:                              ;   in Loop: Header=BB46_6 Depth=1
	s_or_b64 exec, exec, s[40:41]
.LBB46_11:                              ;   in Loop: Header=BB46_6 Depth=1
	s_or_b64 exec, exec, s[38:39]
	s_waitcnt vmcnt(0)
	ds_bpermute_b32 v24, v31, v24
	ds_bpermute_b32 v25, v31, v25
.LBB46_12:                              ;   in Loop: Header=BB46_6 Depth=1
	s_and_b64 vcc, exec, s[28:29]
	s_cbranch_vccz .LBB46_24
.LBB46_13:                              ;   in Loop: Header=BB46_6 Depth=1
	v_mov_b32_e32 v27, 0
	v_mov_b32_e32 v26, 0
	s_and_saveexec_b64 s[38:39], s[8:9]
	s_cbranch_execz .LBB46_17
; %bb.14:                               ;   in Loop: Header=BB46_6 Depth=1
	v_mov_b32_e32 v27, s37
	v_add_co_u32_e32 v26, vcc, s36, v14
	v_addc_co_u32_e32 v27, vcc, 0, v27, vcc
	v_cmp_gt_i64_e32 vcc, s[16:17], v[26:27]
	v_mov_b32_e32 v27, 0
	v_mov_b32_e32 v26, 0
	s_and_saveexec_b64 s[40:41], vcc
	s_cbranch_execz .LBB46_16
; %bb.15:                               ;   in Loop: Header=BB46_6 Depth=1
	global_load_dwordx2 v[26:27], v[22:23], off
.LBB46_16:                              ;   in Loop: Header=BB46_6 Depth=1
	s_or_b64 exec, exec, s[40:41]
.LBB46_17:                              ;   in Loop: Header=BB46_6 Depth=1
	s_or_b64 exec, exec, s[38:39]
	s_cbranch_execnz .LBB46_5
	s_branch .LBB46_25
.LBB46_18:                              ;   in Loop: Header=BB46_6 Depth=1
                                        ; implicit-def: $vgpr25
	s_cbranch_execz .LBB46_12
; %bb.19:                               ;   in Loop: Header=BB46_6 Depth=1
	s_waitcnt lgkmcnt(0)
	v_mov_b32_e32 v25, 0
	v_mov_b32_e32 v24, 0
	s_and_saveexec_b64 s[38:39], s[4:5]
	s_cbranch_execz .LBB46_23
; %bb.20:                               ;   in Loop: Header=BB46_6 Depth=1
	v_mov_b32_e32 v25, s37
	v_add_co_u32_e32 v24, vcc, s36, v14
	v_addc_co_u32_e32 v25, vcc, 0, v25, vcc
	v_cmp_gt_i64_e32 vcc, s[16:17], v[24:25]
	v_mov_b32_e32 v25, 0
	v_mov_b32_e32 v24, 0
	s_and_saveexec_b64 s[40:41], vcc
	s_cbranch_execz .LBB46_22
; %bb.21:                               ;   in Loop: Header=BB46_6 Depth=1
	global_load_dwordx2 v[24:25], v[16:17], off
.LBB46_22:                              ;   in Loop: Header=BB46_6 Depth=1
	s_or_b64 exec, exec, s[40:41]
.LBB46_23:                              ;   in Loop: Header=BB46_6 Depth=1
	s_or_b64 exec, exec, s[38:39]
	s_and_b64 vcc, exec, s[28:29]
	s_cbranch_vccnz .LBB46_13
.LBB46_24:                              ;   in Loop: Header=BB46_6 Depth=1
                                        ; implicit-def: $vgpr27
.LBB46_25:                              ;   in Loop: Header=BB46_6 Depth=1
	s_waitcnt vmcnt(0)
	v_mov_b32_e32 v26, 0
	v_mov_b32_e32 v27, 0
	s_and_saveexec_b64 s[38:39], s[0:1]
	s_cbranch_execz .LBB46_4
; %bb.26:                               ;   in Loop: Header=BB46_6 Depth=1
	v_mov_b32_e32 v27, s37
	v_add_co_u32_e32 v26, vcc, s36, v28
	v_addc_co_u32_e32 v27, vcc, 0, v27, vcc
	v_cmp_gt_i64_e32 vcc, s[16:17], v[26:27]
	v_mov_b32_e32 v27, 0
	v_mov_b32_e32 v26, 0
	s_and_saveexec_b64 s[40:41], vcc
	s_cbranch_execz .LBB46_3
; %bb.27:                               ;   in Loop: Header=BB46_6 Depth=1
	global_load_dwordx2 v[26:27], v[20:21], off
	s_branch .LBB46_3
.LBB46_28:
	ds_read_b32 v18, v30
.LBB46_29:
	s_load_dwordx4 s[4:7], s[6:7], 0x90
	s_lshl_b64 s[0:1], s[50:51], 3
	s_waitcnt lgkmcnt(0)
	s_add_u32 s2, s18, s0
	s_addc_u32 s3, s19, s1
	v_mul_lo_u32 v14, v7, s6
	v_mul_lo_u32 v16, v6, s7
	v_mad_u64_u32 v[6:7], s[0:1], v6, s6, 0
	v_add3_u32 v7, v7, v16, v14
	v_mul_lo_u32 v14, v5, s4
	v_mul_lo_u32 v16, v4, s5
	v_mad_u64_u32 v[4:5], s[0:1], v4, s4, 0
	v_lshlrev_b64 v[6:7], 3, v[6:7]
	v_add3_u32 v5, v5, v16, v14
	v_mov_b32_e32 v14, s3
	v_add_co_u32_e32 v6, vcc, s2, v6
	v_addc_co_u32_e32 v7, vcc, v14, v7, vcc
	v_lshlrev_b64 v[4:5], 3, v[4:5]
	v_add_co_u32_e32 v16, vcc, v6, v4
	v_lshl_or_b32 v6, v15, 4, v10
	v_addc_co_u32_e32 v17, vcc, v7, v5, vcc
	v_mbcnt_hi_u32_b32 v7, -1, v29
	v_and_b32_e32 v6, 63, v6
	v_and_or_b32 v6, v7, 64, v6
	v_lshlrev_b32_e32 v14, 2, v6
	v_mad_u64_u32 v[6:7], s[0:1], v10, s6, 0
	v_cmp_lt_u64_e32 vcc, v[10:11], v[8:9]
	v_mov_b32_e32 v8, v7
	v_mad_u64_u32 v[8:9], s[0:1], v10, s7, v[8:9]
	v_mov_b32_e32 v7, v8
	v_lshlrev_b64 v[8:9], 3, v[6:7]
	ds_bpermute_b32 v6, v14, v18
	ds_bpermute_b32 v7, v14, v26
	v_add_co_u32_e64 v10, s[0:1], v16, v8
	v_lshlrev_b32_e32 v4, 2, v28
	v_mov_b32_e32 v5, 0
	v_addc_co_u32_e64 v11, s[0:1], v17, v9, s[0:1]
	v_cmp_lt_u64_e64 s[0:1], v[4:5], v[2:3]
	s_and_b64 s[0:1], vcc, s[0:1]
	s_and_saveexec_b64 s[2:3], s[0:1]
	s_cbranch_execz .LBB46_31
; %bb.30:
	v_mad_u64_u32 v[8:9], s[0:1], v4, s4, 0
	v_mov_b32_e32 v16, v9
	v_mad_u64_u32 v[16:17], s[0:1], v4, s5, v[16:17]
	v_mov_b32_e32 v9, v16
	v_lshlrev_b64 v[8:9], 3, v[8:9]
	v_add_co_u32_e64 v8, s[0:1], v10, v8
	v_addc_co_u32_e64 v9, s[0:1], v11, v9, s[0:1]
	global_load_dwordx2 v[16:17], v[8:9], off
	s_waitcnt lgkmcnt(0)
	v_pk_mul_f32 v[18:19], s[14:15], v[6:7]
	v_mul_f32_e32 v7, s14, v7
	v_fmac_f32_e32 v7, s15, v6
	v_sub_f32_e32 v15, v18, v19
	s_waitcnt vmcnt(0)
	v_mul_f32_e32 v6, s13, v17
	v_mul_f32_e32 v17, s12, v17
	v_fma_f32 v6, s12, v16, -v6
	v_fmac_f32_e32 v17, s13, v16
	v_add_f32_e32 v6, v15, v6
	v_add_f32_e32 v7, v7, v17
	global_store_dwordx2 v[8:9], v[6:7], off
.LBB46_31:
	s_or_b64 exec, exec, s[2:3]
	s_waitcnt lgkmcnt(1)
	ds_bpermute_b32 v6, v14, v25
	s_waitcnt lgkmcnt(1)
	ds_bpermute_b32 v7, v14, v27
	v_or_b32_e32 v8, 1, v4
	v_mov_b32_e32 v9, v5
	v_cmp_lt_u64_e64 s[0:1], v[8:9], v[2:3]
	s_and_b64 s[0:1], vcc, s[0:1]
	s_and_saveexec_b64 s[2:3], s[0:1]
	s_cbranch_execz .LBB46_33
; %bb.32:
	v_mad_u64_u32 v[16:17], s[0:1], v8, s4, 0
	v_mov_b32_e32 v18, v17
	v_mad_u64_u32 v[8:9], s[0:1], v8, s5, v[18:19]
	v_mov_b32_e32 v17, v8
	v_lshlrev_b64 v[8:9], 3, v[16:17]
	v_add_co_u32_e64 v8, s[0:1], v10, v8
	v_addc_co_u32_e64 v9, s[0:1], v11, v9, s[0:1]
	global_load_dwordx2 v[16:17], v[8:9], off
	s_waitcnt lgkmcnt(1)
	v_mul_f32_e32 v15, s15, v6
	s_waitcnt lgkmcnt(0)
	v_pk_mul_f32 v[18:19], s[14:15], v[6:7]
	v_fmac_f32_e32 v15, s14, v7
	v_sub_f32_e32 v6, v18, v19
	s_waitcnt vmcnt(0)
	v_mul_f32_e32 v7, s13, v17
	v_mul_f32_e32 v17, s12, v17
	v_fma_f32 v7, s12, v16, -v7
	v_fmac_f32_e32 v17, s13, v16
	v_add_f32_e32 v6, v6, v7
	v_add_f32_e32 v7, v15, v17
	global_store_dwordx2 v[8:9], v[6:7], off
.LBB46_33:
	s_or_b64 exec, exec, s[2:3]
	s_waitcnt lgkmcnt(1)
	ds_bpermute_b32 v6, v14, v12
	s_waitcnt lgkmcnt(1)
	ds_bpermute_b32 v7, v14, v0
	v_or_b32_e32 v8, 2, v4
	v_mov_b32_e32 v9, v5
	v_cmp_lt_u64_e64 s[0:1], v[8:9], v[2:3]
	s_and_b64 s[0:1], vcc, s[0:1]
	s_and_saveexec_b64 s[2:3], s[0:1]
	s_cbranch_execz .LBB46_35
; %bb.34:
	v_mad_u64_u32 v[16:17], s[0:1], v8, s4, 0
	v_mov_b32_e32 v0, v17
	v_mad_u64_u32 v[8:9], s[0:1], v8, s5, v[0:1]
	v_mov_b32_e32 v17, v8
	v_lshlrev_b64 v[8:9], 3, v[16:17]
	v_add_co_u32_e64 v8, s[0:1], v10, v8
	v_addc_co_u32_e64 v9, s[0:1], v11, v9, s[0:1]
	global_load_dwordx2 v[16:17], v[8:9], off
	s_waitcnt lgkmcnt(1)
	v_mul_f32_e32 v0, s15, v6
	s_waitcnt lgkmcnt(0)
	v_pk_mul_f32 v[18:19], s[14:15], v[6:7]
	v_fmac_f32_e32 v0, s14, v7
	v_sub_f32_e32 v6, v18, v19
	s_waitcnt vmcnt(0)
	v_mul_f32_e32 v7, s13, v17
	v_mul_f32_e32 v12, s12, v17
	v_fma_f32 v7, s12, v16, -v7
	v_fmac_f32_e32 v12, s13, v16
	v_add_f32_e32 v6, v6, v7
	v_add_f32_e32 v7, v0, v12
	global_store_dwordx2 v[8:9], v[6:7], off
.LBB46_35:
	s_or_b64 exec, exec, s[2:3]
	ds_bpermute_b32 v0, v14, v13
	ds_bpermute_b32 v1, v14, v1
	v_or_b32_e32 v4, 3, v4
	v_cmp_lt_u64_e64 s[0:1], v[4:5], v[2:3]
	s_and_b64 s[0:1], vcc, s[0:1]
	s_and_b64 exec, exec, s[0:1]
	s_cbranch_execz .LBB46_37
; %bb.36:
	v_mad_u64_u32 v[2:3], s[0:1], v4, s4, 0
	s_waitcnt lgkmcnt(3)
	v_mov_b32_e32 v6, v3
	s_waitcnt lgkmcnt(2)
	v_mad_u64_u32 v[4:5], s[0:1], v4, s5, v[6:7]
	v_mov_b32_e32 v3, v4
	v_lshlrev_b64 v[2:3], 3, v[2:3]
	v_add_co_u32_e32 v2, vcc, v10, v2
	v_addc_co_u32_e32 v3, vcc, v11, v3, vcc
	global_load_dwordx2 v[4:5], v[2:3], off
	s_waitcnt lgkmcnt(0)
	v_pk_mul_f32 v[6:7], s[14:15], v[0:1]
	v_mov_b32_e32 v6, v1
	s_mov_b32 s0, s15
	v_mov_b32_e32 v8, v7
	v_pk_mul_f32 v[6:7], s[14:15], v[6:7] op_sel_hi:[1,0]
	v_pk_fma_f32 v[8:9], s[14:15], v[0:1], v[8:9] neg_lo:[0,0,1] neg_hi:[0,0,1]
	v_pk_fma_f32 v[0:1], s[0:1], v[0:1], v[6:7]
	s_mov_b32 s2, s13
	s_waitcnt vmcnt(0)
	v_pk_mul_f32 v[6:7], s[12:13], v[4:5]
	v_mov_b32_e32 v6, v5
	v_mov_b32_e32 v10, v7
	v_pk_mul_f32 v[6:7], s[12:13], v[6:7]
	v_pk_fma_f32 v[10:11], s[12:13], v[4:5], v[10:11] neg_lo:[0,0,1] neg_hi:[0,0,1]
	v_pk_fma_f32 v[4:5], s[2:3], v[4:5], v[6:7]
	v_pk_add_f32 v[6:7], v[8:9], v[10:11]
	v_pk_add_f32 v[0:1], v[0:1], v[4:5]
	v_mov_b32_e32 v7, v0
	global_store_dwordx2 v[2:3], v[6:7], off
.LBB46_37:
	s_endpgm
	.section	.rodata,"a",@progbits
	.p2align	6, 0x0
	.amdhsa_kernel _ZN9rocsolver6v33100L16mfma_gemm_kernelI19rocblas_complex_numIfElPKS3_PKPS3_S6_S8_EEv18rocblas_operation_S9_T0_SA_SA_T1_T2_lSA_SA_lT3_lSA_SA_lSB_T4_lSA_SA_l
		.amdhsa_group_segment_fixed_size 20480
		.amdhsa_private_segment_fixed_size 0
		.amdhsa_kernarg_size 424
		.amdhsa_user_sgpr_count 8
		.amdhsa_user_sgpr_private_segment_buffer 1
		.amdhsa_user_sgpr_dispatch_ptr 1
		.amdhsa_user_sgpr_queue_ptr 0
		.amdhsa_user_sgpr_kernarg_segment_ptr 1
		.amdhsa_user_sgpr_dispatch_id 0
		.amdhsa_user_sgpr_flat_scratch_init 0
		.amdhsa_user_sgpr_kernarg_preload_length 0
		.amdhsa_user_sgpr_kernarg_preload_offset 0
		.amdhsa_user_sgpr_private_segment_size 0
		.amdhsa_uses_dynamic_stack 0
		.amdhsa_system_sgpr_private_segment_wavefront_offset 0
		.amdhsa_system_sgpr_workgroup_id_x 1
		.amdhsa_system_sgpr_workgroup_id_y 1
		.amdhsa_system_sgpr_workgroup_id_z 1
		.amdhsa_system_sgpr_workgroup_info 0
		.amdhsa_system_vgpr_workitem_id 2
		.amdhsa_next_free_vgpr 51
		.amdhsa_next_free_sgpr 52
		.amdhsa_accum_offset 52
		.amdhsa_reserve_vcc 1
		.amdhsa_reserve_flat_scratch 0
		.amdhsa_float_round_mode_32 0
		.amdhsa_float_round_mode_16_64 0
		.amdhsa_float_denorm_mode_32 3
		.amdhsa_float_denorm_mode_16_64 3
		.amdhsa_dx10_clamp 1
		.amdhsa_ieee_mode 1
		.amdhsa_fp16_overflow 0
		.amdhsa_tg_split 0
		.amdhsa_exception_fp_ieee_invalid_op 0
		.amdhsa_exception_fp_denorm_src 0
		.amdhsa_exception_fp_ieee_div_zero 0
		.amdhsa_exception_fp_ieee_overflow 0
		.amdhsa_exception_fp_ieee_underflow 0
		.amdhsa_exception_fp_ieee_inexact 0
		.amdhsa_exception_int_div_zero 0
	.end_amdhsa_kernel
	.section	.text._ZN9rocsolver6v33100L16mfma_gemm_kernelI19rocblas_complex_numIfElPKS3_PKPS3_S6_S8_EEv18rocblas_operation_S9_T0_SA_SA_T1_T2_lSA_SA_lT3_lSA_SA_lSB_T4_lSA_SA_l,"axG",@progbits,_ZN9rocsolver6v33100L16mfma_gemm_kernelI19rocblas_complex_numIfElPKS3_PKPS3_S6_S8_EEv18rocblas_operation_S9_T0_SA_SA_T1_T2_lSA_SA_lT3_lSA_SA_lSB_T4_lSA_SA_l,comdat
.Lfunc_end46:
	.size	_ZN9rocsolver6v33100L16mfma_gemm_kernelI19rocblas_complex_numIfElPKS3_PKPS3_S6_S8_EEv18rocblas_operation_S9_T0_SA_SA_T1_T2_lSA_SA_lT3_lSA_SA_lSB_T4_lSA_SA_l, .Lfunc_end46-_ZN9rocsolver6v33100L16mfma_gemm_kernelI19rocblas_complex_numIfElPKS3_PKPS3_S6_S8_EEv18rocblas_operation_S9_T0_SA_SA_T1_T2_lSA_SA_lT3_lSA_SA_lSB_T4_lSA_SA_l
                                        ; -- End function
	.section	.AMDGPU.csdata,"",@progbits
; Kernel info:
; codeLenInByte = 2672
; NumSgprs: 56
; NumVgprs: 51
; NumAgprs: 0
; TotalNumVgprs: 51
; ScratchSize: 0
; MemoryBound: 0
; FloatMode: 240
; IeeeMode: 1
; LDSByteSize: 20480 bytes/workgroup (compile time only)
; SGPRBlocks: 6
; VGPRBlocks: 6
; NumSGPRsForWavesPerEU: 56
; NumVGPRsForWavesPerEU: 51
; AccumOffset: 52
; Occupancy: 8
; WaveLimiterHint : 1
; COMPUTE_PGM_RSRC2:SCRATCH_EN: 0
; COMPUTE_PGM_RSRC2:USER_SGPR: 8
; COMPUTE_PGM_RSRC2:TRAP_HANDLER: 0
; COMPUTE_PGM_RSRC2:TGID_X_EN: 1
; COMPUTE_PGM_RSRC2:TGID_Y_EN: 1
; COMPUTE_PGM_RSRC2:TGID_Z_EN: 1
; COMPUTE_PGM_RSRC2:TIDIG_COMP_CNT: 2
; COMPUTE_PGM_RSRC3_GFX90A:ACCUM_OFFSET: 12
; COMPUTE_PGM_RSRC3_GFX90A:TG_SPLIT: 0
	.section	.text._ZN9rocsolver6v33100L16mfma_gemm_kernelI19rocblas_complex_numIfElS3_PKPS3_S4_S6_EEv18rocblas_operation_S7_T0_S8_S8_T1_T2_lS8_S8_lT3_lS8_S8_lS9_T4_lS8_S8_l,"axG",@progbits,_ZN9rocsolver6v33100L16mfma_gemm_kernelI19rocblas_complex_numIfElS3_PKPS3_S4_S6_EEv18rocblas_operation_S7_T0_S8_S8_T1_T2_lS8_S8_lT3_lS8_S8_lS9_T4_lS8_S8_l,comdat
	.globl	_ZN9rocsolver6v33100L16mfma_gemm_kernelI19rocblas_complex_numIfElS3_PKPS3_S4_S6_EEv18rocblas_operation_S7_T0_S8_S8_T1_T2_lS8_S8_lT3_lS8_S8_lS9_T4_lS8_S8_l ; -- Begin function _ZN9rocsolver6v33100L16mfma_gemm_kernelI19rocblas_complex_numIfElS3_PKPS3_S4_S6_EEv18rocblas_operation_S7_T0_S8_S8_T1_T2_lS8_S8_lT3_lS8_S8_lS9_T4_lS8_S8_l
	.p2align	8
	.type	_ZN9rocsolver6v33100L16mfma_gemm_kernelI19rocblas_complex_numIfElS3_PKPS3_S4_S6_EEv18rocblas_operation_S7_T0_S8_S8_T1_T2_lS8_S8_lT3_lS8_S8_lS9_T4_lS8_S8_l,@function
_ZN9rocsolver6v33100L16mfma_gemm_kernelI19rocblas_complex_numIfElS3_PKPS3_S4_S6_EEv18rocblas_operation_S7_T0_S8_S8_T1_T2_lS8_S8_lT3_lS8_S8_lS9_T4_lS8_S8_l: ; @_ZN9rocsolver6v33100L16mfma_gemm_kernelI19rocblas_complex_numIfElS3_PKPS3_S4_S6_EEv18rocblas_operation_S7_T0_S8_S8_T1_T2_lS8_S8_lT3_lS8_S8_lS9_T4_lS8_S8_l
; %bb.0:
	s_load_dword s0, s[6:7], 0xb4
	s_load_dwordx4 s[20:23], s[6:7], 0x8
	v_and_b32_e32 v1, 0x3ff, v0
	v_lshrrev_b32_e32 v2, 6, v1
	v_mov_b32_e32 v3, 0
	s_waitcnt lgkmcnt(0)
	s_lshr_b32 s2, s0, 16
	s_bfe_u32 s0, s0, 0xa0006
	v_mov_b32_e32 v4, s8
	v_bfe_u32 v8, v0, 10, 10
	v_mov_b32_e32 v9, v3
	v_mad_u64_u32 v[16:17], s[0:1], s0, v4, v[2:3]
	v_mov_b32_e32 v2, s9
	v_mad_u64_u32 v[20:21], s[0:1], s2, v2, v[8:9]
	v_lshlrev_b64 v[4:5], 4, v[16:17]
	v_lshlrev_b64 v[6:7], 4, v[20:21]
	v_cmp_gt_i64_e32 vcc, s[20:21], v[4:5]
	v_cmp_gt_i64_e64 s[0:1], s[22:23], v[6:7]
	s_mov_b32 s11, 0
	s_and_b64 s[0:1], vcc, s[0:1]
	s_and_saveexec_b64 s[2:3], s[0:1]
	s_cbranch_execz .LBB47_37
; %bb.1:
	s_load_dwordx2 s[0:1], s[4:5], 0x4
	s_load_dwordx8 s[12:19], s[6:7], 0x80
	v_bfe_u32 v0, v0, 20, 10
	s_lshl_b64 s[2:3], s[10:11], 3
	s_load_dwordx4 s[28:31], s[6:7], 0x18
	s_load_dwordx2 s[8:9], s[6:7], 0x78
	s_waitcnt lgkmcnt(0)
	s_lshr_b32 s0, s0, 16
	s_mul_i32 s0, s0, s1
	v_mul_u32_u24_e32 v2, s1, v8
	v_mul_lo_u32 v8, s0, v1
	v_add3_u32 v0, v8, v2, v0
	v_add_co_u32_e32 v8, vcc, 16, v4
	v_addc_co_u32_e32 v9, vcc, 0, v5, vcc
	s_and_b32 s0, s20, 15
	v_mul_lo_u32 v30, v0, 20
	v_mov_b32_e32 v0, s0
	v_cmp_lt_u64_e32 vcc, s[20:21], v[8:9]
	s_and_b32 s0, s22, 15
	v_cndmask_b32_e32 v2, 16, v0, vcc
	v_mov_b32_e32 v0, s0
	s_add_u32 s0, s12, s2
	s_addc_u32 s1, s13, s3
	v_add_co_u32_e32 v8, vcc, 16, v6
	s_load_dwordx2 s[12:13], s[0:1], 0x0
	v_addc_co_u32_e32 v9, vcc, 0, v7, vcc
	v_cmp_lt_u64_e32 vcc, s[22:23], v[8:9]
	v_cndmask_b32_e32 v8, 16, v0, vcc
	v_mov_b32_e32 v9, v3
	v_bfe_u32 v10, v1, 2, 4
	v_mov_b32_e32 v11, v3
	v_cmp_lt_i64_e64 s[0:1], s[28:29], 1
	v_and_b32_e32 v15, 63, v1
	v_and_b32_e32 v28, 3, v1
	s_and_b64 vcc, exec, s[0:1]
	v_cmp_lt_u64_e64 s[0:1], v[10:11], v[8:9]
	v_mbcnt_lo_u32_b32 v29, -1, 0
	v_mov_b32_e32 v13, v3
	v_mov_b32_e32 v0, v3
	;; [unrolled: 1-line block ×8, first 2 shown]
	ds_write2_b32 v30, v3, v3 offset0:2 offset1:3
	ds_write2_b32 v30, v3, v3 offset1:1
	ds_write_b32 v30, v3 offset:16
	s_cbranch_vccnz .LBB47_29
; %bb.2:
	s_load_dwordx8 s[36:43], s[6:7], 0x28
	s_load_dwordx2 s[46:47], s[6:7], 0x0
	s_load_dwordx8 s[20:27], s[6:7], 0x50
	v_lshrrev_b32_e32 v14, 4, v15
	v_and_b32_e32 v0, 15, v15
	s_waitcnt lgkmcnt(0)
	s_add_u32 s2, s36, s2
	s_addc_u32 s3, s37, s3
	s_cmpk_lg_i32 s46, 0x6f
	s_cselect_b64 s[34:35], -1, 0
	s_cmpk_lg_i32 s47, 0x6f
	s_cselect_b64 s[36:37], -1, 0
	s_cmpk_eq_i32 s47, 0x6f
	s_cselect_b32 s11, s26, s24
	s_cselect_b32 s33, s27, s25
	s_cmpk_eq_i32 s46, 0x6f
	s_cselect_b32 s52, s40, s42
	s_cselect_b32 s53, s41, s43
	v_mul_lo_u32 v18, s53, v16
	v_mul_lo_u32 v17, s52, v17
	v_mad_u64_u32 v[12:13], s[52:53], s52, v16, 0
	v_add3_u32 v13, v13, v17, v18
	v_mad_u64_u32 v[16:17], s[52:53], s42, v14, 0
	v_mov_b32_e32 v18, v17
	v_mad_u64_u32 v[18:19], s[52:53], s43, v14, v[18:19]
	v_mov_b32_e32 v17, v18
	v_lshlrev_b64 v[12:13], 7, v[12:13]
	v_lshlrev_b64 v[16:17], 3, v[16:17]
	v_add_co_u32_e32 v22, vcc, v12, v16
	s_load_dwordx2 s[48:49], s[2:3], 0x0
	v_addc_co_u32_e32 v23, vcc, v13, v17, vcc
	v_mad_u64_u32 v[16:17], s[52:53], s40, v0, 0
	v_mov_b32_e32 v18, v17
	s_cmpk_eq_i32 s46, 0x71
	v_mad_u64_u32 v[18:19], s[52:53], s41, v0, v[18:19]
	s_cselect_b64 s[44:45], -1, 0
	s_cmpk_eq_i32 s47, 0x71
	v_mov_b32_e32 v17, v18
	s_cselect_b64 s[46:47], -1, 0
	v_lshlrev_b64 v[16:17], 3, v[16:17]
	s_lshl_b64 s[38:39], s[38:39], 3
	v_add_co_u32_e32 v16, vcc, v22, v16
	s_waitcnt lgkmcnt(0)
	s_add_u32 s52, s48, s38
	v_addc_co_u32_e32 v17, vcc, v23, v17, vcc
	s_addc_u32 s53, s49, s39
	v_mov_b32_e32 v18, s53
	v_add_co_u32_e32 v16, vcc, s52, v16
	v_addc_co_u32_e32 v17, vcc, v18, v17, vcc
	v_mad_u64_u32 v[18:19], s[48:49], s42, v10, 0
	v_mov_b32_e32 v22, v19
	s_lshl_b64 s[38:39], s[42:43], 5
	v_mad_u64_u32 v[22:23], s[42:43], s43, v10, v[22:23]
	v_mov_b32_e32 v19, v22
	v_lshlrev_b64 v[18:19], 3, v[18:19]
	v_add_co_u32_e32 v22, vcc, v12, v18
	v_addc_co_u32_e32 v23, vcc, v13, v19, vcc
	v_mad_u64_u32 v[12:13], s[42:43], s40, v28, 0
	v_mov_b32_e32 v18, v13
	v_mad_u64_u32 v[18:19], s[42:43], s41, v28, v[18:19]
	v_mov_b32_e32 v13, v18
	v_lshlrev_b64 v[12:13], 3, v[12:13]
	v_add_co_u32_e32 v12, vcc, v22, v12
	v_addc_co_u32_e32 v13, vcc, v23, v13, vcc
	v_mov_b32_e32 v19, s53
	v_add_co_u32_e32 v18, vcc, s52, v12
	s_load_dwordx2 s[50:51], s[6:7], 0x70
	v_addc_co_u32_e32 v19, vcc, v19, v13, vcc
	v_mul_lo_u32 v22, s33, v20
	v_mul_lo_u32 v21, s11, v21
	v_mad_u64_u32 v[12:13], s[42:43], s11, v20, 0
	v_add3_u32 v13, v13, v21, v22
	v_mad_u64_u32 v[20:21], s[42:43], s26, v10, 0
	v_mov_b32_e32 v22, v21
	v_mad_u64_u32 v[22:23], s[42:43], s27, v10, v[22:23]
	v_mov_b32_e32 v21, v22
	v_lshlrev_b64 v[12:13], 7, v[12:13]
	v_lshlrev_b64 v[20:21], 3, v[20:21]
	s_waitcnt lgkmcnt(0)
	s_mul_i32 s11, s51, s10
	s_mul_hi_u32 s33, s50, s10
	v_add_co_u32_e32 v20, vcc, v12, v20
	s_add_i32 s11, s33, s11
	s_mul_i32 s10, s50, s10
	v_addc_co_u32_e32 v21, vcc, v13, v21, vcc
	s_lshl_b64 s[42:43], s[10:11], 3
	v_mov_b32_e32 v27, s43
	v_add_co_u32_e32 v24, vcc, s42, v20
	v_addc_co_u32_e32 v25, vcc, v21, v27, vcc
	v_mad_u64_u32 v[20:21], s[10:11], s24, v28, 0
	v_mov_b32_e32 v22, v21
	v_mad_u64_u32 v[22:23], s[10:11], s25, v28, v[22:23]
	v_mov_b32_e32 v21, v22
	s_lshl_b64 s[40:41], s[40:41], 5
	v_lshlrev_b64 v[20:21], 3, v[20:21]
	s_lshl_b64 s[10:11], s[22:23], 3
	v_add_co_u32_e32 v20, vcc, v24, v20
	s_add_u32 s22, s20, s10
	v_addc_co_u32_e32 v21, vcc, v25, v21, vcc
	s_addc_u32 s23, s21, s11
	v_mov_b32_e32 v22, s23
	v_add_co_u32_e32 v20, vcc, s22, v20
	v_addc_co_u32_e32 v21, vcc, v22, v21, vcc
	v_mad_u64_u32 v[22:23], s[20:21], s26, v14, 0
	v_mov_b32_e32 v24, v23
	v_mad_u64_u32 v[24:25], s[20:21], s27, v14, v[24:25]
	v_mov_b32_e32 v23, v24
	v_lshlrev_b64 v[22:23], 3, v[22:23]
	v_add_co_u32_e32 v12, vcc, v12, v22
	v_addc_co_u32_e32 v13, vcc, v13, v23, vcc
	v_add_co_u32_e32 v24, vcc, s42, v12
	v_addc_co_u32_e32 v25, vcc, v13, v27, vcc
	v_mad_u64_u32 v[12:13], s[20:21], s24, v0, 0
	v_mov_b32_e32 v22, v13
	v_mad_u64_u32 v[22:23], s[20:21], s25, v0, v[22:23]
	v_mov_b32_e32 v13, v22
	v_mov_b32_e32 v1, 0
	v_lshlrev_b64 v[12:13], 3, v[12:13]
	v_lshl_or_b32 v26, v0, 2, v14
	v_cmp_lt_u64_e64 s[4:5], v[0:1], v[2:3]
	v_cmp_lt_u64_e64 s[6:7], v[0:1], v[8:9]
	v_add_co_u32_e32 v0, vcc, v24, v12
	v_addc_co_u32_e32 v12, vcc, v25, v13, vcc
	v_add_co_u32_e32 v22, vcc, s22, v0
	v_mbcnt_hi_u32_b32 v0, -1, v29
	v_mov_b32_e32 v13, s23
	v_and_or_b32 v0, v0, 64, v26
	v_cmp_lt_u64_e64 s[2:3], v[10:11], v[2:3]
	s_lshl_b64 s[10:11], s[24:25], 5
	v_addc_co_u32_e32 v23, vcc, v13, v12, vcc
	s_lshl_b64 s[20:21], s[26:27], 5
	s_mov_b64 s[22:23], 0
	v_lshlrev_b32_e32 v31, 2, v0
	v_mov_b32_e32 v12, v1
	v_mov_b32_e32 v0, v1
	;; [unrolled: 1-line block ×3, first 2 shown]
	s_branch .LBB47_6
.LBB47_3:                               ;   in Loop: Header=BB47_6 Depth=1
	s_or_b64 exec, exec, s[26:27]
.LBB47_4:                               ;   in Loop: Header=BB47_6 Depth=1
	s_or_b64 exec, exec, s[24:25]
	s_waitcnt vmcnt(0)
	ds_bpermute_b32 v26, v31, v26
	ds_bpermute_b32 v27, v31, v27
.LBB47_5:                               ;   in Loop: Header=BB47_6 Depth=1
	s_waitcnt vmcnt(0) lgkmcnt(0)
	v_cndmask_b32_e64 v50, v25, -v25, s[44:45]
	v_cndmask_b32_e64 v27, v27, -v27, s[46:47]
	v_mfma_f32_16x16x4f32 v[32:35], v24, v26, 0
	v_add_co_u32_e32 v16, vcc, s38, v16
	s_add_u32 s22, s22, 4
	s_addc_u32 s23, s23, 0
	v_mfma_f32_16x16x4f32 v[40:43], v50, v27, 0
	v_mfma_f32_16x16x4f32 v[36:39], v24, v27, 0
	ds_read2_b32 v[24:25], v30 offset1:1
	ds_read2_b32 v[44:45], v30 offset0:3 offset1:4
	ds_read2_b32 v[46:47], v30 offset0:2 offset1:3
	ds_read2_b32 v[48:49], v30 offset0:1 offset1:2
	s_nop 5
	v_sub_f32_e32 v35, v35, v43
	v_sub_f32_e32 v34, v34, v42
	;; [unrolled: 1-line block ×4, first 2 shown]
	s_waitcnt lgkmcnt(1)
	v_mov_b32_e32 v25, v46
	v_pk_add_f32 v[24:25], v[24:25], v[32:33]
	v_pk_add_f32 v[12:13], v[12:13], v[34:35]
	v_mfma_f32_16x16x4f32 v[32:35], v50, v26, 0
	s_waitcnt lgkmcnt(0)
	v_mov_b32_e32 v49, v44
	s_nop 7
	s_nop 0
	v_pk_add_f32 v[26:27], v[38:39], v[34:35]
	v_pk_add_f32 v[32:33], v[36:37], v[32:33]
	;; [unrolled: 1-line block ×4, first 2 shown]
	ds_write2_b32 v30, v24, v26 offset1:1
	ds_write2_b32 v30, v25, v27 offset0:2 offset1:3
	ds_write_b32 v30, v12 offset:16
	v_mov_b32_e32 v24, s39
	v_addc_co_u32_e32 v17, vcc, v17, v24, vcc
	v_mov_b32_e32 v24, s41
	v_add_co_u32_e32 v18, vcc, s40, v18
	v_addc_co_u32_e32 v19, vcc, v19, v24, vcc
	v_mov_b32_e32 v24, s11
	v_add_co_u32_e32 v20, vcc, s10, v20
	;; [unrolled: 3-line block ×3, first 2 shown]
	v_addc_co_u32_e32 v23, vcc, v23, v24, vcc
	v_pk_mov_b32 v[32:33], s[28:29], s[28:29] op_sel:[0,1]
	v_cmp_ge_i64_e32 vcc, s[22:23], v[32:33]
	s_cbranch_vccnz .LBB47_28
.LBB47_6:                               ; =>This Inner Loop Header: Depth=1
	s_and_b64 vcc, exec, s[34:35]
	s_cbranch_vccz .LBB47_18
; %bb.7:                                ;   in Loop: Header=BB47_6 Depth=1
	v_mov_b32_e32 v24, 0
	v_mov_b32_e32 v25, 0
	s_and_saveexec_b64 s[24:25], s[2:3]
	s_cbranch_execz .LBB47_11
; %bb.8:                                ;   in Loop: Header=BB47_6 Depth=1
	v_mov_b32_e32 v25, s23
	v_add_co_u32_e32 v24, vcc, s22, v28
	v_addc_co_u32_e32 v25, vcc, 0, v25, vcc
	v_cmp_gt_i64_e32 vcc, s[28:29], v[24:25]
	v_mov_b32_e32 v25, 0
	v_mov_b32_e32 v24, 0
	s_and_saveexec_b64 s[26:27], vcc
	s_cbranch_execz .LBB47_10
; %bb.9:                                ;   in Loop: Header=BB47_6 Depth=1
	global_load_dwordx2 v[24:25], v[18:19], off
.LBB47_10:                              ;   in Loop: Header=BB47_6 Depth=1
	s_or_b64 exec, exec, s[26:27]
.LBB47_11:                              ;   in Loop: Header=BB47_6 Depth=1
	s_or_b64 exec, exec, s[24:25]
	s_waitcnt vmcnt(0)
	ds_bpermute_b32 v24, v31, v24
	ds_bpermute_b32 v25, v31, v25
.LBB47_12:                              ;   in Loop: Header=BB47_6 Depth=1
	s_and_b64 vcc, exec, s[36:37]
	s_cbranch_vccz .LBB47_24
.LBB47_13:                              ;   in Loop: Header=BB47_6 Depth=1
	v_mov_b32_e32 v27, 0
	v_mov_b32_e32 v26, 0
	s_and_saveexec_b64 s[24:25], s[6:7]
	s_cbranch_execz .LBB47_17
; %bb.14:                               ;   in Loop: Header=BB47_6 Depth=1
	v_mov_b32_e32 v27, s23
	v_add_co_u32_e32 v26, vcc, s22, v14
	v_addc_co_u32_e32 v27, vcc, 0, v27, vcc
	v_cmp_gt_i64_e32 vcc, s[28:29], v[26:27]
	v_mov_b32_e32 v27, 0
	v_mov_b32_e32 v26, 0
	s_and_saveexec_b64 s[26:27], vcc
	s_cbranch_execz .LBB47_16
; %bb.15:                               ;   in Loop: Header=BB47_6 Depth=1
	global_load_dwordx2 v[26:27], v[22:23], off
.LBB47_16:                              ;   in Loop: Header=BB47_6 Depth=1
	s_or_b64 exec, exec, s[26:27]
.LBB47_17:                              ;   in Loop: Header=BB47_6 Depth=1
	s_or_b64 exec, exec, s[24:25]
	s_cbranch_execnz .LBB47_5
	s_branch .LBB47_25
.LBB47_18:                              ;   in Loop: Header=BB47_6 Depth=1
                                        ; implicit-def: $vgpr25
	s_cbranch_execz .LBB47_12
; %bb.19:                               ;   in Loop: Header=BB47_6 Depth=1
	s_waitcnt lgkmcnt(0)
	v_mov_b32_e32 v25, 0
	v_mov_b32_e32 v24, 0
	s_and_saveexec_b64 s[24:25], s[4:5]
	s_cbranch_execz .LBB47_23
; %bb.20:                               ;   in Loop: Header=BB47_6 Depth=1
	v_mov_b32_e32 v25, s23
	v_add_co_u32_e32 v24, vcc, s22, v14
	v_addc_co_u32_e32 v25, vcc, 0, v25, vcc
	v_cmp_gt_i64_e32 vcc, s[28:29], v[24:25]
	v_mov_b32_e32 v25, 0
	v_mov_b32_e32 v24, 0
	s_and_saveexec_b64 s[26:27], vcc
	s_cbranch_execz .LBB47_22
; %bb.21:                               ;   in Loop: Header=BB47_6 Depth=1
	global_load_dwordx2 v[24:25], v[16:17], off
.LBB47_22:                              ;   in Loop: Header=BB47_6 Depth=1
	s_or_b64 exec, exec, s[26:27]
.LBB47_23:                              ;   in Loop: Header=BB47_6 Depth=1
	s_or_b64 exec, exec, s[24:25]
	s_and_b64 vcc, exec, s[36:37]
	s_cbranch_vccnz .LBB47_13
.LBB47_24:                              ;   in Loop: Header=BB47_6 Depth=1
                                        ; implicit-def: $vgpr27
.LBB47_25:                              ;   in Loop: Header=BB47_6 Depth=1
	s_waitcnt vmcnt(0)
	v_mov_b32_e32 v26, 0
	v_mov_b32_e32 v27, 0
	s_and_saveexec_b64 s[24:25], s[0:1]
	s_cbranch_execz .LBB47_4
; %bb.26:                               ;   in Loop: Header=BB47_6 Depth=1
	v_mov_b32_e32 v27, s23
	v_add_co_u32_e32 v26, vcc, s22, v28
	v_addc_co_u32_e32 v27, vcc, 0, v27, vcc
	v_cmp_gt_i64_e32 vcc, s[28:29], v[26:27]
	v_mov_b32_e32 v27, 0
	v_mov_b32_e32 v26, 0
	s_and_saveexec_b64 s[26:27], vcc
	s_cbranch_execz .LBB47_3
; %bb.27:                               ;   in Loop: Header=BB47_6 Depth=1
	global_load_dwordx2 v[26:27], v[20:21], off
	s_branch .LBB47_3
.LBB47_28:
	ds_read_b32 v18, v30
.LBB47_29:
	s_lshl_b64 s[0:1], s[14:15], 3
	s_waitcnt lgkmcnt(0)
	s_add_u32 s2, s12, s0
	s_addc_u32 s3, s13, s1
	v_mul_lo_u32 v14, v7, s18
	v_mul_lo_u32 v16, v6, s19
	v_mad_u64_u32 v[6:7], s[0:1], v6, s18, 0
	v_add3_u32 v7, v7, v16, v14
	v_mul_lo_u32 v14, v5, s16
	v_mul_lo_u32 v16, v4, s17
	v_mad_u64_u32 v[4:5], s[0:1], v4, s16, 0
	v_lshlrev_b64 v[6:7], 3, v[6:7]
	v_add3_u32 v5, v5, v16, v14
	v_mov_b32_e32 v14, s3
	v_add_co_u32_e32 v6, vcc, s2, v6
	v_addc_co_u32_e32 v7, vcc, v14, v7, vcc
	v_lshlrev_b64 v[4:5], 3, v[4:5]
	v_add_co_u32_e32 v16, vcc, v6, v4
	v_lshl_or_b32 v6, v15, 4, v10
	v_addc_co_u32_e32 v17, vcc, v7, v5, vcc
	v_mbcnt_hi_u32_b32 v7, -1, v29
	v_and_b32_e32 v6, 63, v6
	v_and_or_b32 v6, v7, 64, v6
	v_lshlrev_b32_e32 v14, 2, v6
	v_mad_u64_u32 v[6:7], s[0:1], v10, s18, 0
	v_cmp_lt_u64_e32 vcc, v[10:11], v[8:9]
	v_mov_b32_e32 v8, v7
	v_mad_u64_u32 v[8:9], s[0:1], v10, s19, v[8:9]
	v_mov_b32_e32 v7, v8
	v_lshlrev_b64 v[8:9], 3, v[6:7]
	ds_bpermute_b32 v6, v14, v18
	ds_bpermute_b32 v7, v14, v26
	v_add_co_u32_e64 v10, s[0:1], v16, v8
	v_lshlrev_b32_e32 v4, 2, v28
	v_mov_b32_e32 v5, 0
	v_addc_co_u32_e64 v11, s[0:1], v17, v9, s[0:1]
	v_cmp_lt_u64_e64 s[0:1], v[4:5], v[2:3]
	s_and_b64 s[0:1], vcc, s[0:1]
	s_and_saveexec_b64 s[2:3], s[0:1]
	s_cbranch_execz .LBB47_31
; %bb.30:
	v_mad_u64_u32 v[8:9], s[0:1], v4, s16, 0
	v_mov_b32_e32 v16, v9
	v_mad_u64_u32 v[16:17], s[0:1], v4, s17, v[16:17]
	v_mov_b32_e32 v9, v16
	v_lshlrev_b64 v[8:9], 3, v[8:9]
	v_add_co_u32_e64 v8, s[0:1], v10, v8
	v_addc_co_u32_e64 v9, s[0:1], v11, v9, s[0:1]
	global_load_dwordx2 v[16:17], v[8:9], off
	s_waitcnt lgkmcnt(0)
	v_pk_mul_f32 v[18:19], s[30:31], v[6:7]
	v_mul_f32_e32 v7, s30, v7
	v_fmac_f32_e32 v7, s31, v6
	v_sub_f32_e32 v15, v18, v19
	s_waitcnt vmcnt(0)
	v_mul_f32_e32 v6, s9, v17
	v_mul_f32_e32 v17, s8, v17
	v_fma_f32 v6, s8, v16, -v6
	v_fmac_f32_e32 v17, s9, v16
	v_add_f32_e32 v6, v15, v6
	v_add_f32_e32 v7, v7, v17
	global_store_dwordx2 v[8:9], v[6:7], off
.LBB47_31:
	s_or_b64 exec, exec, s[2:3]
	s_waitcnt lgkmcnt(1)
	ds_bpermute_b32 v6, v14, v25
	s_waitcnt lgkmcnt(1)
	ds_bpermute_b32 v7, v14, v27
	v_or_b32_e32 v8, 1, v4
	v_mov_b32_e32 v9, v5
	v_cmp_lt_u64_e64 s[0:1], v[8:9], v[2:3]
	s_and_b64 s[0:1], vcc, s[0:1]
	s_and_saveexec_b64 s[2:3], s[0:1]
	s_cbranch_execz .LBB47_33
; %bb.32:
	v_mad_u64_u32 v[16:17], s[0:1], v8, s16, 0
	v_mov_b32_e32 v18, v17
	v_mad_u64_u32 v[8:9], s[0:1], v8, s17, v[18:19]
	v_mov_b32_e32 v17, v8
	v_lshlrev_b64 v[8:9], 3, v[16:17]
	v_add_co_u32_e64 v8, s[0:1], v10, v8
	v_addc_co_u32_e64 v9, s[0:1], v11, v9, s[0:1]
	global_load_dwordx2 v[16:17], v[8:9], off
	s_waitcnt lgkmcnt(1)
	v_mul_f32_e32 v15, s31, v6
	s_waitcnt lgkmcnt(0)
	v_pk_mul_f32 v[18:19], s[30:31], v[6:7]
	v_fmac_f32_e32 v15, s30, v7
	v_sub_f32_e32 v6, v18, v19
	s_waitcnt vmcnt(0)
	v_mul_f32_e32 v7, s9, v17
	v_mul_f32_e32 v17, s8, v17
	v_fma_f32 v7, s8, v16, -v7
	v_fmac_f32_e32 v17, s9, v16
	v_add_f32_e32 v6, v6, v7
	v_add_f32_e32 v7, v15, v17
	global_store_dwordx2 v[8:9], v[6:7], off
.LBB47_33:
	s_or_b64 exec, exec, s[2:3]
	s_waitcnt lgkmcnt(1)
	ds_bpermute_b32 v6, v14, v12
	s_waitcnt lgkmcnt(1)
	ds_bpermute_b32 v7, v14, v0
	v_or_b32_e32 v8, 2, v4
	v_mov_b32_e32 v9, v5
	v_cmp_lt_u64_e64 s[0:1], v[8:9], v[2:3]
	s_and_b64 s[0:1], vcc, s[0:1]
	s_and_saveexec_b64 s[2:3], s[0:1]
	s_cbranch_execz .LBB47_35
; %bb.34:
	v_mad_u64_u32 v[16:17], s[0:1], v8, s16, 0
	v_mov_b32_e32 v0, v17
	v_mad_u64_u32 v[8:9], s[0:1], v8, s17, v[0:1]
	v_mov_b32_e32 v17, v8
	v_lshlrev_b64 v[8:9], 3, v[16:17]
	v_add_co_u32_e64 v8, s[0:1], v10, v8
	v_addc_co_u32_e64 v9, s[0:1], v11, v9, s[0:1]
	global_load_dwordx2 v[16:17], v[8:9], off
	s_waitcnt lgkmcnt(1)
	v_mul_f32_e32 v0, s31, v6
	s_waitcnt lgkmcnt(0)
	v_pk_mul_f32 v[18:19], s[30:31], v[6:7]
	v_fmac_f32_e32 v0, s30, v7
	v_sub_f32_e32 v6, v18, v19
	s_waitcnt vmcnt(0)
	v_mul_f32_e32 v7, s9, v17
	v_mul_f32_e32 v12, s8, v17
	v_fma_f32 v7, s8, v16, -v7
	v_fmac_f32_e32 v12, s9, v16
	v_add_f32_e32 v6, v6, v7
	v_add_f32_e32 v7, v0, v12
	global_store_dwordx2 v[8:9], v[6:7], off
.LBB47_35:
	s_or_b64 exec, exec, s[2:3]
	ds_bpermute_b32 v0, v14, v13
	ds_bpermute_b32 v1, v14, v1
	v_or_b32_e32 v4, 3, v4
	v_cmp_lt_u64_e64 s[0:1], v[4:5], v[2:3]
	s_and_b64 s[0:1], vcc, s[0:1]
	s_and_b64 exec, exec, s[0:1]
	s_cbranch_execz .LBB47_37
; %bb.36:
	v_mad_u64_u32 v[2:3], s[0:1], v4, s16, 0
	s_waitcnt lgkmcnt(3)
	v_mov_b32_e32 v6, v3
	s_waitcnt lgkmcnt(2)
	v_mad_u64_u32 v[4:5], s[0:1], v4, s17, v[6:7]
	v_mov_b32_e32 v3, v4
	v_lshlrev_b64 v[2:3], 3, v[2:3]
	v_add_co_u32_e32 v2, vcc, v10, v2
	v_addc_co_u32_e32 v3, vcc, v11, v3, vcc
	global_load_dwordx2 v[4:5], v[2:3], off
	s_waitcnt lgkmcnt(0)
	v_pk_mul_f32 v[6:7], s[30:31], v[0:1]
	v_mov_b32_e32 v6, v1
	s_mov_b32 s0, s31
	v_mov_b32_e32 v8, v7
	v_pk_mul_f32 v[6:7], s[30:31], v[6:7] op_sel_hi:[1,0]
	v_pk_fma_f32 v[8:9], s[30:31], v[0:1], v[8:9] neg_lo:[0,0,1] neg_hi:[0,0,1]
	v_pk_fma_f32 v[0:1], s[0:1], v[0:1], v[6:7]
	s_mov_b32 s2, s9
	s_waitcnt vmcnt(0)
	v_pk_mul_f32 v[6:7], s[8:9], v[4:5]
	v_mov_b32_e32 v6, v5
	v_mov_b32_e32 v10, v7
	v_pk_mul_f32 v[6:7], s[8:9], v[6:7]
	v_pk_fma_f32 v[10:11], s[8:9], v[4:5], v[10:11] neg_lo:[0,0,1] neg_hi:[0,0,1]
	v_pk_fma_f32 v[4:5], s[2:3], v[4:5], v[6:7]
	v_pk_add_f32 v[6:7], v[8:9], v[10:11]
	v_pk_add_f32 v[0:1], v[0:1], v[4:5]
	v_mov_b32_e32 v7, v0
	global_store_dwordx2 v[2:3], v[6:7], off
.LBB47_37:
	s_endpgm
	.section	.rodata,"a",@progbits
	.p2align	6, 0x0
	.amdhsa_kernel _ZN9rocsolver6v33100L16mfma_gemm_kernelI19rocblas_complex_numIfElS3_PKPS3_S4_S6_EEv18rocblas_operation_S7_T0_S8_S8_T1_T2_lS8_S8_lT3_lS8_S8_lS9_T4_lS8_S8_l
		.amdhsa_group_segment_fixed_size 20480
		.amdhsa_private_segment_fixed_size 0
		.amdhsa_kernarg_size 424
		.amdhsa_user_sgpr_count 8
		.amdhsa_user_sgpr_private_segment_buffer 1
		.amdhsa_user_sgpr_dispatch_ptr 1
		.amdhsa_user_sgpr_queue_ptr 0
		.amdhsa_user_sgpr_kernarg_segment_ptr 1
		.amdhsa_user_sgpr_dispatch_id 0
		.amdhsa_user_sgpr_flat_scratch_init 0
		.amdhsa_user_sgpr_kernarg_preload_length 0
		.amdhsa_user_sgpr_kernarg_preload_offset 0
		.amdhsa_user_sgpr_private_segment_size 0
		.amdhsa_uses_dynamic_stack 0
		.amdhsa_system_sgpr_private_segment_wavefront_offset 0
		.amdhsa_system_sgpr_workgroup_id_x 1
		.amdhsa_system_sgpr_workgroup_id_y 1
		.amdhsa_system_sgpr_workgroup_id_z 1
		.amdhsa_system_sgpr_workgroup_info 0
		.amdhsa_system_vgpr_workitem_id 2
		.amdhsa_next_free_vgpr 51
		.amdhsa_next_free_sgpr 54
		.amdhsa_accum_offset 52
		.amdhsa_reserve_vcc 1
		.amdhsa_reserve_flat_scratch 0
		.amdhsa_float_round_mode_32 0
		.amdhsa_float_round_mode_16_64 0
		.amdhsa_float_denorm_mode_32 3
		.amdhsa_float_denorm_mode_16_64 3
		.amdhsa_dx10_clamp 1
		.amdhsa_ieee_mode 1
		.amdhsa_fp16_overflow 0
		.amdhsa_tg_split 0
		.amdhsa_exception_fp_ieee_invalid_op 0
		.amdhsa_exception_fp_denorm_src 0
		.amdhsa_exception_fp_ieee_div_zero 0
		.amdhsa_exception_fp_ieee_overflow 0
		.amdhsa_exception_fp_ieee_underflow 0
		.amdhsa_exception_fp_ieee_inexact 0
		.amdhsa_exception_int_div_zero 0
	.end_amdhsa_kernel
	.section	.text._ZN9rocsolver6v33100L16mfma_gemm_kernelI19rocblas_complex_numIfElS3_PKPS3_S4_S6_EEv18rocblas_operation_S7_T0_S8_S8_T1_T2_lS8_S8_lT3_lS8_S8_lS9_T4_lS8_S8_l,"axG",@progbits,_ZN9rocsolver6v33100L16mfma_gemm_kernelI19rocblas_complex_numIfElS3_PKPS3_S4_S6_EEv18rocblas_operation_S7_T0_S8_S8_T1_T2_lS8_S8_lT3_lS8_S8_lS9_T4_lS8_S8_l,comdat
.Lfunc_end47:
	.size	_ZN9rocsolver6v33100L16mfma_gemm_kernelI19rocblas_complex_numIfElS3_PKPS3_S4_S6_EEv18rocblas_operation_S7_T0_S8_S8_T1_T2_lS8_S8_lT3_lS8_S8_lS9_T4_lS8_S8_l, .Lfunc_end47-_ZN9rocsolver6v33100L16mfma_gemm_kernelI19rocblas_complex_numIfElS3_PKPS3_S4_S6_EEv18rocblas_operation_S7_T0_S8_S8_T1_T2_lS8_S8_lT3_lS8_S8_lS9_T4_lS8_S8_l
                                        ; -- End function
	.section	.AMDGPU.csdata,"",@progbits
; Kernel info:
; codeLenInByte = 2692
; NumSgprs: 58
; NumVgprs: 51
; NumAgprs: 0
; TotalNumVgprs: 51
; ScratchSize: 0
; MemoryBound: 0
; FloatMode: 240
; IeeeMode: 1
; LDSByteSize: 20480 bytes/workgroup (compile time only)
; SGPRBlocks: 7
; VGPRBlocks: 6
; NumSGPRsForWavesPerEU: 58
; NumVGPRsForWavesPerEU: 51
; AccumOffset: 52
; Occupancy: 8
; WaveLimiterHint : 1
; COMPUTE_PGM_RSRC2:SCRATCH_EN: 0
; COMPUTE_PGM_RSRC2:USER_SGPR: 8
; COMPUTE_PGM_RSRC2:TRAP_HANDLER: 0
; COMPUTE_PGM_RSRC2:TGID_X_EN: 1
; COMPUTE_PGM_RSRC2:TGID_Y_EN: 1
; COMPUTE_PGM_RSRC2:TGID_Z_EN: 1
; COMPUTE_PGM_RSRC2:TIDIG_COMP_CNT: 2
; COMPUTE_PGM_RSRC3_GFX90A:ACCUM_OFFSET: 12
; COMPUTE_PGM_RSRC3_GFX90A:TG_SPLIT: 0
	.section	.text._ZN9rocsolver6v33100L11gemm_kernelI19rocblas_complex_numIfElPKS3_PKPS3_S6_S8_EEvT0_S9_S9_T1_bT2_lS9_S9_lbT3_lS9_S9_lSA_T4_lS9_S9_l,"axG",@progbits,_ZN9rocsolver6v33100L11gemm_kernelI19rocblas_complex_numIfElPKS3_PKPS3_S6_S8_EEvT0_S9_S9_T1_bT2_lS9_S9_lbT3_lS9_S9_lSA_T4_lS9_S9_l,comdat
	.globl	_ZN9rocsolver6v33100L11gemm_kernelI19rocblas_complex_numIfElPKS3_PKPS3_S6_S8_EEvT0_S9_S9_T1_bT2_lS9_S9_lbT3_lS9_S9_lSA_T4_lS9_S9_l ; -- Begin function _ZN9rocsolver6v33100L11gemm_kernelI19rocblas_complex_numIfElPKS3_PKPS3_S6_S8_EEvT0_S9_S9_T1_bT2_lS9_S9_lbT3_lS9_S9_lSA_T4_lS9_S9_l
	.p2align	8
	.type	_ZN9rocsolver6v33100L11gemm_kernelI19rocblas_complex_numIfElPKS3_PKPS3_S6_S8_EEvT0_S9_S9_T1_bT2_lS9_S9_lbT3_lS9_S9_lSA_T4_lS9_S9_l,@function
_ZN9rocsolver6v33100L11gemm_kernelI19rocblas_complex_numIfElPKS3_PKPS3_S6_S8_EEvT0_S9_S9_T1_bT2_lS9_S9_lbT3_lS9_S9_lSA_T4_lS9_S9_l: ; @_ZN9rocsolver6v33100L11gemm_kernelI19rocblas_complex_numIfElPKS3_PKPS3_S6_S8_EEvT0_S9_S9_T1_bT2_lS9_S9_lbT3_lS9_S9_lSA_T4_lS9_S9_l
; %bb.0:
	s_load_dword s0, s[4:5], 0xbc
	s_load_dwordx8 s[24:31], s[4:5], 0x0
	v_and_b32_e32 v4, 0x3ff, v0
	v_mov_b32_e32 v5, 0
	v_mov_b32_e32 v1, s6
	s_waitcnt lgkmcnt(0)
	s_lshr_b32 s2, s0, 16
	s_and_b32 s0, s0, 0xffff
	v_mad_u64_u32 v[2:3], s[0:1], s0, v1, v[4:5]
	v_bfe_u32 v4, v0, 10, 10
	v_mov_b32_e32 v0, s7
	v_mad_u64_u32 v[0:1], s[0:1], s2, v0, v[4:5]
	v_cmp_gt_i64_e32 vcc, s[24:25], v[2:3]
	v_cmp_gt_i64_e64 s[0:1], s[26:27], v[0:1]
	s_mov_b32 s9, 0
	s_and_b64 s[0:1], vcc, s[0:1]
	s_and_saveexec_b64 s[2:3], s[0:1]
	s_cbranch_execz .LBB48_9
; %bb.1:
	s_load_dwordx16 s[12:27], s[4:5], 0x58
	s_load_dwordx2 s[2:3], s[30:31], 0x0
	s_lshl_b64 s[10:11], s[8:9], 3
	v_mov_b32_e32 v4, 0
	s_waitcnt lgkmcnt(0)
	s_add_u32 s6, s24, s10
	s_addc_u32 s7, s25, s11
	s_load_dwordx2 s[0:1], s[22:23], 0x0
	v_cmp_lt_i64_e64 s[22:23], s[28:29], 1
	s_load_dwordx2 s[6:7], s[6:7], 0x0
	s_and_b64 vcc, exec, s[22:23]
	s_cbranch_vccnz .LBB48_8
; %bb.2:
	s_load_dwordx8 s[36:43], s[4:5], 0x28
	s_load_dword s9, s[4:5], 0x20
	s_load_dword s22, s[4:5], 0x50
	v_mul_lo_u32 v8, s19, v0
	v_mul_lo_u32 v9, s18, v1
	s_waitcnt lgkmcnt(0)
	s_add_u32 s10, s36, s10
	s_addc_u32 s11, s37, s11
	s_load_dwordx2 s[24:25], s[10:11], 0x0
	s_bitcmp1_b32 s9, 0
	s_cselect_b64 s[10:11], -1, 0
	s_xor_b64 s[10:11], s[10:11], -1
	s_bitcmp1_b32 s22, 0
	v_mad_u64_u32 v[4:5], s[30:31], s40, v2, 0
	v_mul_lo_u32 v6, s41, v2
	s_cselect_b64 s[22:23], -1, 0
	v_mul_lo_u32 v7, s40, v3
	s_lshl_b64 s[30:31], s[38:39], 3
	v_add3_u32 v5, v5, v7, v6
	s_waitcnt lgkmcnt(0)
	s_add_u32 s9, s24, s30
	v_lshlrev_b64 v[4:5], 3, v[4:5]
	s_addc_u32 s24, s25, s31
	v_mov_b32_e32 v6, s24
	v_add_co_u32_e32 v4, vcc, s9, v4
	v_addc_co_u32_e32 v5, vcc, v6, v5, vcc
	v_add_co_u32_e32 v6, vcc, 4, v4
	v_addc_co_u32_e32 v7, vcc, 0, v5, vcc
	v_mad_u64_u32 v[4:5], s[18:19], s18, v0, 0
	s_mul_i32 s9, s21, s8
	s_mul_hi_u32 s18, s20, s8
	s_add_i32 s9, s18, s9
	s_mul_i32 s8, s20, s8
	s_lshl_b64 s[24:25], s[42:43], 3
	s_lshl_b64 s[8:9], s[8:9], 3
	s_lshl_b64 s[14:15], s[14:15], 3
	s_add_u32 s12, s12, s14
	s_addc_u32 s13, s13, s15
	v_add3_u32 v5, v5, v9, v8
	s_add_u32 s8, s12, s8
	v_lshlrev_b64 v[4:5], 3, v[4:5]
	s_addc_u32 s9, s13, s9
	v_mov_b32_e32 v8, s9
	v_add_co_u32_e32 v4, vcc, s8, v4
	v_addc_co_u32_e32 v5, vcc, v8, v5, vcc
	v_add_co_u32_e32 v8, vcc, 4, v4
	s_lshl_b64 s[8:9], s[16:17], 3
	v_addc_co_u32_e32 v9, vcc, 0, v5, vcc
	v_mov_b32_e32 v5, 0
	v_mov_b32_e32 v12, s25
	v_mov_b32_e32 v13, s9
	v_mov_b32_e32 v4, 0
	s_branch .LBB48_4
.LBB48_3:                               ;   in Loop: Header=BB48_4 Depth=1
	global_load_dwordx2 v[14:15], v[8:9], off offset:-4
	v_add_co_u32_e32 v6, vcc, s24, v6
	s_add_u32 s28, s28, -1
	v_addc_co_u32_e32 v7, vcc, v7, v12, vcc
	s_addc_u32 s29, s29, -1
	v_add_co_u32_e32 v8, vcc, s8, v8
	s_cmp_eq_u64 s[28:29], 0
	v_addc_co_u32_e32 v9, vcc, v9, v13, vcc
	s_waitcnt vmcnt(0)
	v_cndmask_b32_e64 v15, v15, -v15, s[22:23]
	v_mul_f32_e32 v16, v14, v11
	v_mul_f32_e32 v11, v15, v11
	v_fmac_f32_e32 v16, v15, v10
	v_fma_f32 v10, v14, v10, -v11
	v_add_f32_e32 v5, v5, v16
	v_add_f32_e32 v4, v4, v10
	s_cbranch_scc1 .LBB48_8
.LBB48_4:                               ; =>This Inner Loop Header: Depth=1
	s_and_b64 vcc, exec, s[10:11]
	s_cbranch_vccz .LBB48_6
; %bb.5:                                ;   in Loop: Header=BB48_4 Depth=1
	global_load_dwordx2 v[10:11], v[6:7], off offset:-4
	s_cbranch_execnz .LBB48_3
	s_branch .LBB48_7
.LBB48_6:                               ;   in Loop: Header=BB48_4 Depth=1
                                        ; implicit-def: $vgpr11
.LBB48_7:                               ;   in Loop: Header=BB48_4 Depth=1
	global_load_dwordx2 v[10:11], v[6:7], off offset:-4
	s_waitcnt vmcnt(0)
	v_xor_b32_e32 v11, 0x80000000, v11
	s_branch .LBB48_3
.LBB48_8:
	s_load_dwordx4 s[8:11], s[4:5], 0x98
	s_lshl_b64 s[4:5], s[26:27], 3
	s_waitcnt lgkmcnt(0)
	s_add_u32 s6, s6, s4
	s_addc_u32 s7, s7, s5
	v_mul_lo_u32 v6, v3, s8
	v_mul_lo_u32 v7, v2, s9
	v_mad_u64_u32 v[2:3], s[4:5], v2, s8, 0
	v_add3_u32 v3, v3, v7, v6
	v_mul_lo_u32 v6, v1, s10
	v_mul_lo_u32 v7, v0, s11
	v_mad_u64_u32 v[0:1], s[4:5], v0, s10, 0
	v_lshlrev_b64 v[2:3], 3, v[2:3]
	v_add3_u32 v1, v1, v7, v6
	v_mov_b32_e32 v6, s7
	v_add_co_u32_e32 v2, vcc, s6, v2
	v_addc_co_u32_e32 v3, vcc, v6, v3, vcc
	v_lshlrev_b64 v[0:1], 3, v[0:1]
	v_add_co_u32_e32 v0, vcc, v2, v0
	v_addc_co_u32_e32 v1, vcc, v3, v1, vcc
	global_load_dwordx2 v[2:3], v[0:1], off
	v_mul_f32_e32 v6, s3, v5
	v_mul_f32_e32 v5, s2, v5
	v_fma_f32 v6, s2, v4, -v6
	v_fmac_f32_e32 v5, s3, v4
	s_waitcnt vmcnt(0)
	v_mul_f32_e32 v4, s1, v3
	v_mul_f32_e32 v3, s0, v3
	v_fma_f32 v4, s0, v2, -v4
	v_fmac_f32_e32 v3, s1, v2
	v_add_f32_e32 v2, v6, v4
	v_add_f32_e32 v3, v5, v3
	global_store_dwordx2 v[0:1], v[2:3], off
.LBB48_9:
	s_endpgm
	.section	.rodata,"a",@progbits
	.p2align	6, 0x0
	.amdhsa_kernel _ZN9rocsolver6v33100L11gemm_kernelI19rocblas_complex_numIfElPKS3_PKPS3_S6_S8_EEvT0_S9_S9_T1_bT2_lS9_S9_lbT3_lS9_S9_lSA_T4_lS9_S9_l
		.amdhsa_group_segment_fixed_size 0
		.amdhsa_private_segment_fixed_size 0
		.amdhsa_kernarg_size 432
		.amdhsa_user_sgpr_count 6
		.amdhsa_user_sgpr_private_segment_buffer 1
		.amdhsa_user_sgpr_dispatch_ptr 0
		.amdhsa_user_sgpr_queue_ptr 0
		.amdhsa_user_sgpr_kernarg_segment_ptr 1
		.amdhsa_user_sgpr_dispatch_id 0
		.amdhsa_user_sgpr_flat_scratch_init 0
		.amdhsa_user_sgpr_kernarg_preload_length 0
		.amdhsa_user_sgpr_kernarg_preload_offset 0
		.amdhsa_user_sgpr_private_segment_size 0
		.amdhsa_uses_dynamic_stack 0
		.amdhsa_system_sgpr_private_segment_wavefront_offset 0
		.amdhsa_system_sgpr_workgroup_id_x 1
		.amdhsa_system_sgpr_workgroup_id_y 1
		.amdhsa_system_sgpr_workgroup_id_z 1
		.amdhsa_system_sgpr_workgroup_info 0
		.amdhsa_system_vgpr_workitem_id 1
		.amdhsa_next_free_vgpr 17
		.amdhsa_next_free_sgpr 44
		.amdhsa_accum_offset 20
		.amdhsa_reserve_vcc 1
		.amdhsa_reserve_flat_scratch 0
		.amdhsa_float_round_mode_32 0
		.amdhsa_float_round_mode_16_64 0
		.amdhsa_float_denorm_mode_32 3
		.amdhsa_float_denorm_mode_16_64 3
		.amdhsa_dx10_clamp 1
		.amdhsa_ieee_mode 1
		.amdhsa_fp16_overflow 0
		.amdhsa_tg_split 0
		.amdhsa_exception_fp_ieee_invalid_op 0
		.amdhsa_exception_fp_denorm_src 0
		.amdhsa_exception_fp_ieee_div_zero 0
		.amdhsa_exception_fp_ieee_overflow 0
		.amdhsa_exception_fp_ieee_underflow 0
		.amdhsa_exception_fp_ieee_inexact 0
		.amdhsa_exception_int_div_zero 0
	.end_amdhsa_kernel
	.section	.text._ZN9rocsolver6v33100L11gemm_kernelI19rocblas_complex_numIfElPKS3_PKPS3_S6_S8_EEvT0_S9_S9_T1_bT2_lS9_S9_lbT3_lS9_S9_lSA_T4_lS9_S9_l,"axG",@progbits,_ZN9rocsolver6v33100L11gemm_kernelI19rocblas_complex_numIfElPKS3_PKPS3_S6_S8_EEvT0_S9_S9_T1_bT2_lS9_S9_lbT3_lS9_S9_lSA_T4_lS9_S9_l,comdat
.Lfunc_end48:
	.size	_ZN9rocsolver6v33100L11gemm_kernelI19rocblas_complex_numIfElPKS3_PKPS3_S6_S8_EEvT0_S9_S9_T1_bT2_lS9_S9_lbT3_lS9_S9_lSA_T4_lS9_S9_l, .Lfunc_end48-_ZN9rocsolver6v33100L11gemm_kernelI19rocblas_complex_numIfElPKS3_PKPS3_S6_S8_EEvT0_S9_S9_T1_bT2_lS9_S9_lbT3_lS9_S9_lSA_T4_lS9_S9_l
                                        ; -- End function
	.section	.AMDGPU.csdata,"",@progbits
; Kernel info:
; codeLenInByte = 764
; NumSgprs: 48
; NumVgprs: 17
; NumAgprs: 0
; TotalNumVgprs: 17
; ScratchSize: 0
; MemoryBound: 0
; FloatMode: 240
; IeeeMode: 1
; LDSByteSize: 0 bytes/workgroup (compile time only)
; SGPRBlocks: 5
; VGPRBlocks: 2
; NumSGPRsForWavesPerEU: 48
; NumVGPRsForWavesPerEU: 17
; AccumOffset: 20
; Occupancy: 8
; WaveLimiterHint : 1
; COMPUTE_PGM_RSRC2:SCRATCH_EN: 0
; COMPUTE_PGM_RSRC2:USER_SGPR: 6
; COMPUTE_PGM_RSRC2:TRAP_HANDLER: 0
; COMPUTE_PGM_RSRC2:TGID_X_EN: 1
; COMPUTE_PGM_RSRC2:TGID_Y_EN: 1
; COMPUTE_PGM_RSRC2:TGID_Z_EN: 1
; COMPUTE_PGM_RSRC2:TIDIG_COMP_CNT: 1
; COMPUTE_PGM_RSRC3_GFX90A:ACCUM_OFFSET: 4
; COMPUTE_PGM_RSRC3_GFX90A:TG_SPLIT: 0
	.section	.text._ZN9rocsolver6v33100L11gemm_kernelI19rocblas_complex_numIfElS3_PKPS3_S4_S6_EEvT0_S7_S7_T1_bT2_lS7_S7_lbT3_lS7_S7_lS8_T4_lS7_S7_l,"axG",@progbits,_ZN9rocsolver6v33100L11gemm_kernelI19rocblas_complex_numIfElS3_PKPS3_S4_S6_EEvT0_S7_S7_T1_bT2_lS7_S7_lbT3_lS7_S7_lS8_T4_lS7_S7_l,comdat
	.globl	_ZN9rocsolver6v33100L11gemm_kernelI19rocblas_complex_numIfElS3_PKPS3_S4_S6_EEvT0_S7_S7_T1_bT2_lS7_S7_lbT3_lS7_S7_lS8_T4_lS7_S7_l ; -- Begin function _ZN9rocsolver6v33100L11gemm_kernelI19rocblas_complex_numIfElS3_PKPS3_S4_S6_EEvT0_S7_S7_T1_bT2_lS7_S7_lbT3_lS7_S7_lS8_T4_lS7_S7_l
	.p2align	8
	.type	_ZN9rocsolver6v33100L11gemm_kernelI19rocblas_complex_numIfElS3_PKPS3_S4_S6_EEvT0_S7_S7_T1_bT2_lS7_S7_lbT3_lS7_S7_lS8_T4_lS7_S7_l,@function
_ZN9rocsolver6v33100L11gemm_kernelI19rocblas_complex_numIfElS3_PKPS3_S4_S6_EEvT0_S7_S7_T1_bT2_lS7_S7_lbT3_lS7_S7_lS8_T4_lS7_S7_l: ; @_ZN9rocsolver6v33100L11gemm_kernelI19rocblas_complex_numIfElS3_PKPS3_S4_S6_EEvT0_S7_S7_T1_bT2_lS7_S7_lbT3_lS7_S7_lS8_T4_lS7_S7_l
; %bb.0:
	s_load_dword s10, s[4:5], 0xbc
	s_load_dwordx4 s[0:3], s[4:5], 0x0
	v_and_b32_e32 v4, 0x3ff, v0
	v_mov_b32_e32 v5, 0
	v_mov_b32_e32 v1, s6
	s_waitcnt lgkmcnt(0)
	s_lshr_b32 s12, s10, 16
	s_and_b32 s10, s10, 0xffff
	v_mad_u64_u32 v[2:3], s[10:11], s10, v1, v[4:5]
	v_bfe_u32 v4, v0, 10, 10
	v_mov_b32_e32 v0, s7
	v_mad_u64_u32 v[0:1], s[6:7], s12, v0, v[4:5]
	v_cmp_gt_i64_e32 vcc, s[0:1], v[2:3]
	v_cmp_gt_i64_e64 s[0:1], s[2:3], v[0:1]
	s_mov_b32 s9, 0
	s_and_b64 s[0:1], vcc, s[0:1]
	s_and_saveexec_b64 s[2:3], s[0:1]
	s_cbranch_execz .LBB49_9
; %bb.1:
	s_load_dwordx8 s[12:19], s[4:5], 0x88
	s_load_dwordx2 s[28:29], s[4:5], 0x10
	s_load_dwordx4 s[0:3], s[4:5], 0x18
	s_load_dwordx2 s[6:7], s[4:5], 0x80
	s_lshl_b64 s[30:31], s[8:9], 3
	s_waitcnt lgkmcnt(0)
	s_add_u32 s10, s12, s30
	s_addc_u32 s11, s13, s31
	s_load_dwordx2 s[10:11], s[10:11], 0x0
	v_cmp_lt_i64_e64 s[12:13], s[28:29], 1
	s_and_b64 vcc, exec, s[12:13]
	v_mov_b32_e32 v4, 0
	s_cbranch_vccnz .LBB49_8
; %bb.2:
	s_load_dwordx8 s[36:43], s[4:5], 0x28
	s_load_dword s9, s[4:5], 0x50
	s_load_dwordx8 s[20:27], s[4:5], 0x58
	s_load_dwordx2 s[34:35], s[4:5], 0x78
	s_waitcnt lgkmcnt(0)
	s_add_u32 s4, s36, s30
	s_addc_u32 s5, s37, s31
	s_load_dwordx2 s[12:13], s[4:5], 0x0
	s_bitcmp1_b32 s2, 0
	s_cselect_b64 s[2:3], -1, 0
	s_xor_b64 s[2:3], s[2:3], -1
	s_bitcmp1_b32 s9, 0
	v_mad_u64_u32 v[4:5], s[30:31], s40, v2, 0
	s_cselect_b64 s[4:5], -1, 0
	v_mul_lo_u32 v6, s41, v2
	v_mul_lo_u32 v7, s40, v3
	s_lshl_b64 s[30:31], s[38:39], 3
	v_add3_u32 v5, v5, v7, v6
	s_waitcnt lgkmcnt(0)
	s_add_u32 s9, s12, s30
	v_lshlrev_b64 v[4:5], 3, v[4:5]
	s_addc_u32 s12, s13, s31
	v_mov_b32_e32 v6, s12
	v_add_co_u32_e32 v4, vcc, s9, v4
	v_addc_co_u32_e32 v5, vcc, v6, v5, vcc
	v_add_co_u32_e32 v6, vcc, 4, v4
	v_addc_co_u32_e32 v7, vcc, 0, v5, vcc
	v_mul_lo_u32 v8, s27, v0
	v_mul_lo_u32 v9, s26, v1
	v_mad_u64_u32 v[4:5], s[26:27], s26, v0, 0
	s_mul_i32 s9, s35, s8
	s_mul_hi_u32 s26, s34, s8
	s_add_i32 s9, s26, s9
	s_mul_i32 s8, s34, s8
	s_lshl_b64 s[12:13], s[42:43], 3
	s_lshl_b64 s[8:9], s[8:9], 3
	;; [unrolled: 1-line block ×3, first 2 shown]
	s_add_u32 s20, s20, s22
	s_addc_u32 s21, s21, s23
	v_add3_u32 v5, v5, v9, v8
	s_add_u32 s8, s20, s8
	v_lshlrev_b64 v[4:5], 3, v[4:5]
	s_addc_u32 s9, s21, s9
	v_mov_b32_e32 v8, s9
	v_add_co_u32_e32 v4, vcc, s8, v4
	v_addc_co_u32_e32 v5, vcc, v8, v5, vcc
	v_add_co_u32_e32 v8, vcc, 4, v4
	s_lshl_b64 s[8:9], s[24:25], 3
	v_addc_co_u32_e32 v9, vcc, 0, v5, vcc
	v_mov_b32_e32 v5, 0
	v_mov_b32_e32 v12, s13
	;; [unrolled: 1-line block ×4, first 2 shown]
	s_branch .LBB49_4
.LBB49_3:                               ;   in Loop: Header=BB49_4 Depth=1
	global_load_dwordx2 v[14:15], v[8:9], off offset:-4
	v_add_co_u32_e32 v6, vcc, s12, v6
	s_add_u32 s28, s28, -1
	v_addc_co_u32_e32 v7, vcc, v7, v12, vcc
	s_addc_u32 s29, s29, -1
	v_add_co_u32_e32 v8, vcc, s8, v8
	s_cmp_eq_u64 s[28:29], 0
	v_addc_co_u32_e32 v9, vcc, v9, v13, vcc
	s_waitcnt vmcnt(0)
	v_cndmask_b32_e64 v15, v15, -v15, s[4:5]
	v_mul_f32_e32 v16, v14, v11
	v_mul_f32_e32 v11, v15, v11
	v_fmac_f32_e32 v16, v15, v10
	v_fma_f32 v10, v14, v10, -v11
	v_add_f32_e32 v5, v5, v16
	v_add_f32_e32 v4, v4, v10
	s_cbranch_scc1 .LBB49_8
.LBB49_4:                               ; =>This Inner Loop Header: Depth=1
	s_and_b64 vcc, exec, s[2:3]
	s_cbranch_vccz .LBB49_6
; %bb.5:                                ;   in Loop: Header=BB49_4 Depth=1
	global_load_dwordx2 v[10:11], v[6:7], off offset:-4
	s_cbranch_execnz .LBB49_3
	s_branch .LBB49_7
.LBB49_6:                               ;   in Loop: Header=BB49_4 Depth=1
                                        ; implicit-def: $vgpr11
.LBB49_7:                               ;   in Loop: Header=BB49_4 Depth=1
	global_load_dwordx2 v[10:11], v[6:7], off offset:-4
	s_waitcnt vmcnt(0)
	v_xor_b32_e32 v11, 0x80000000, v11
	s_branch .LBB49_3
.LBB49_8:
	s_lshl_b64 s[2:3], s[14:15], 3
	s_waitcnt lgkmcnt(0)
	s_add_u32 s4, s10, s2
	s_addc_u32 s5, s11, s3
	v_mul_lo_u32 v6, v3, s16
	v_mul_lo_u32 v7, v2, s17
	v_mad_u64_u32 v[2:3], s[2:3], v2, s16, 0
	v_add3_u32 v3, v3, v7, v6
	v_mul_lo_u32 v6, v1, s18
	v_mul_lo_u32 v7, v0, s19
	v_mad_u64_u32 v[0:1], s[2:3], v0, s18, 0
	v_lshlrev_b64 v[2:3], 3, v[2:3]
	v_add3_u32 v1, v1, v7, v6
	v_mov_b32_e32 v6, s5
	v_add_co_u32_e32 v2, vcc, s4, v2
	v_addc_co_u32_e32 v3, vcc, v6, v3, vcc
	v_lshlrev_b64 v[0:1], 3, v[0:1]
	v_add_co_u32_e32 v0, vcc, v2, v0
	v_addc_co_u32_e32 v1, vcc, v3, v1, vcc
	global_load_dwordx2 v[2:3], v[0:1], off
	v_mul_f32_e32 v6, s1, v5
	v_mul_f32_e32 v5, s0, v5
	v_fma_f32 v6, s0, v4, -v6
	v_fmac_f32_e32 v5, s1, v4
	s_waitcnt vmcnt(0)
	v_mul_f32_e32 v4, s7, v3
	v_mul_f32_e32 v3, s6, v3
	v_fma_f32 v4, s6, v2, -v4
	v_fmac_f32_e32 v3, s7, v2
	v_add_f32_e32 v2, v6, v4
	v_add_f32_e32 v3, v5, v3
	global_store_dwordx2 v[0:1], v[2:3], off
.LBB49_9:
	s_endpgm
	.section	.rodata,"a",@progbits
	.p2align	6, 0x0
	.amdhsa_kernel _ZN9rocsolver6v33100L11gemm_kernelI19rocblas_complex_numIfElS3_PKPS3_S4_S6_EEvT0_S7_S7_T1_bT2_lS7_S7_lbT3_lS7_S7_lS8_T4_lS7_S7_l
		.amdhsa_group_segment_fixed_size 0
		.amdhsa_private_segment_fixed_size 0
		.amdhsa_kernarg_size 432
		.amdhsa_user_sgpr_count 6
		.amdhsa_user_sgpr_private_segment_buffer 1
		.amdhsa_user_sgpr_dispatch_ptr 0
		.amdhsa_user_sgpr_queue_ptr 0
		.amdhsa_user_sgpr_kernarg_segment_ptr 1
		.amdhsa_user_sgpr_dispatch_id 0
		.amdhsa_user_sgpr_flat_scratch_init 0
		.amdhsa_user_sgpr_kernarg_preload_length 0
		.amdhsa_user_sgpr_kernarg_preload_offset 0
		.amdhsa_user_sgpr_private_segment_size 0
		.amdhsa_uses_dynamic_stack 0
		.amdhsa_system_sgpr_private_segment_wavefront_offset 0
		.amdhsa_system_sgpr_workgroup_id_x 1
		.amdhsa_system_sgpr_workgroup_id_y 1
		.amdhsa_system_sgpr_workgroup_id_z 1
		.amdhsa_system_sgpr_workgroup_info 0
		.amdhsa_system_vgpr_workitem_id 1
		.amdhsa_next_free_vgpr 17
		.amdhsa_next_free_sgpr 44
		.amdhsa_accum_offset 20
		.amdhsa_reserve_vcc 1
		.amdhsa_reserve_flat_scratch 0
		.amdhsa_float_round_mode_32 0
		.amdhsa_float_round_mode_16_64 0
		.amdhsa_float_denorm_mode_32 3
		.amdhsa_float_denorm_mode_16_64 3
		.amdhsa_dx10_clamp 1
		.amdhsa_ieee_mode 1
		.amdhsa_fp16_overflow 0
		.amdhsa_tg_split 0
		.amdhsa_exception_fp_ieee_invalid_op 0
		.amdhsa_exception_fp_denorm_src 0
		.amdhsa_exception_fp_ieee_div_zero 0
		.amdhsa_exception_fp_ieee_overflow 0
		.amdhsa_exception_fp_ieee_underflow 0
		.amdhsa_exception_fp_ieee_inexact 0
		.amdhsa_exception_int_div_zero 0
	.end_amdhsa_kernel
	.section	.text._ZN9rocsolver6v33100L11gemm_kernelI19rocblas_complex_numIfElS3_PKPS3_S4_S6_EEvT0_S7_S7_T1_bT2_lS7_S7_lbT3_lS7_S7_lS8_T4_lS7_S7_l,"axG",@progbits,_ZN9rocsolver6v33100L11gemm_kernelI19rocblas_complex_numIfElS3_PKPS3_S4_S6_EEvT0_S7_S7_T1_bT2_lS7_S7_lbT3_lS7_S7_lS8_T4_lS7_S7_l,comdat
.Lfunc_end49:
	.size	_ZN9rocsolver6v33100L11gemm_kernelI19rocblas_complex_numIfElS3_PKPS3_S4_S6_EEvT0_S7_S7_T1_bT2_lS7_S7_lbT3_lS7_S7_lS8_T4_lS7_S7_l, .Lfunc_end49-_ZN9rocsolver6v33100L11gemm_kernelI19rocblas_complex_numIfElS3_PKPS3_S4_S6_EEvT0_S7_S7_T1_bT2_lS7_S7_lbT3_lS7_S7_lS8_T4_lS7_S7_l
                                        ; -- End function
	.section	.AMDGPU.csdata,"",@progbits
; Kernel info:
; codeLenInByte = 772
; NumSgprs: 48
; NumVgprs: 17
; NumAgprs: 0
; TotalNumVgprs: 17
; ScratchSize: 0
; MemoryBound: 0
; FloatMode: 240
; IeeeMode: 1
; LDSByteSize: 0 bytes/workgroup (compile time only)
; SGPRBlocks: 5
; VGPRBlocks: 2
; NumSGPRsForWavesPerEU: 48
; NumVGPRsForWavesPerEU: 17
; AccumOffset: 20
; Occupancy: 8
; WaveLimiterHint : 1
; COMPUTE_PGM_RSRC2:SCRATCH_EN: 0
; COMPUTE_PGM_RSRC2:USER_SGPR: 6
; COMPUTE_PGM_RSRC2:TRAP_HANDLER: 0
; COMPUTE_PGM_RSRC2:TGID_X_EN: 1
; COMPUTE_PGM_RSRC2:TGID_Y_EN: 1
; COMPUTE_PGM_RSRC2:TGID_Z_EN: 1
; COMPUTE_PGM_RSRC2:TIDIG_COMP_CNT: 1
; COMPUTE_PGM_RSRC3_GFX90A:ACCUM_OFFSET: 4
; COMPUTE_PGM_RSRC3_GFX90A:TG_SPLIT: 0
	.section	.text._ZN9rocsolver6v33100L16mfma_gemm_kernelI19rocblas_complex_numIfElPKS3_PKPS3_S8_S6_EEv18rocblas_operation_S9_T0_SA_SA_T1_T2_lSA_SA_lT3_lSA_SA_lSB_T4_lSA_SA_l,"axG",@progbits,_ZN9rocsolver6v33100L16mfma_gemm_kernelI19rocblas_complex_numIfElPKS3_PKPS3_S8_S6_EEv18rocblas_operation_S9_T0_SA_SA_T1_T2_lSA_SA_lT3_lSA_SA_lSB_T4_lSA_SA_l,comdat
	.globl	_ZN9rocsolver6v33100L16mfma_gemm_kernelI19rocblas_complex_numIfElPKS3_PKPS3_S8_S6_EEv18rocblas_operation_S9_T0_SA_SA_T1_T2_lSA_SA_lT3_lSA_SA_lSB_T4_lSA_SA_l ; -- Begin function _ZN9rocsolver6v33100L16mfma_gemm_kernelI19rocblas_complex_numIfElPKS3_PKPS3_S8_S6_EEv18rocblas_operation_S9_T0_SA_SA_T1_T2_lSA_SA_lT3_lSA_SA_lSB_T4_lSA_SA_l
	.p2align	8
	.type	_ZN9rocsolver6v33100L16mfma_gemm_kernelI19rocblas_complex_numIfElPKS3_PKPS3_S8_S6_EEv18rocblas_operation_S9_T0_SA_SA_T1_T2_lSA_SA_lT3_lSA_SA_lSB_T4_lSA_SA_l,@function
_ZN9rocsolver6v33100L16mfma_gemm_kernelI19rocblas_complex_numIfElPKS3_PKPS3_S8_S6_EEv18rocblas_operation_S9_T0_SA_SA_T1_T2_lSA_SA_lT3_lSA_SA_lSB_T4_lSA_SA_l: ; @_ZN9rocsolver6v33100L16mfma_gemm_kernelI19rocblas_complex_numIfElPKS3_PKPS3_S8_S6_EEv18rocblas_operation_S9_T0_SA_SA_T1_T2_lSA_SA_lT3_lSA_SA_lSB_T4_lSA_SA_l
; %bb.0:
	s_load_dword s0, s[6:7], 0xb4
	s_load_dwordx16 s[12:27], s[6:7], 0x8
	v_and_b32_e32 v1, 0x3ff, v0
	v_lshrrev_b32_e32 v2, 6, v1
	v_mov_b32_e32 v3, 0
	s_waitcnt lgkmcnt(0)
	s_lshr_b32 s2, s0, 16
	s_bfe_u32 s0, s0, 0xa0006
	v_mov_b32_e32 v4, s8
	v_bfe_u32 v8, v0, 10, 10
	v_mov_b32_e32 v9, v3
	v_mad_u64_u32 v[16:17], s[0:1], s0, v4, v[2:3]
	v_mov_b32_e32 v2, s9
	v_mad_u64_u32 v[20:21], s[0:1], s2, v2, v[8:9]
	v_lshlrev_b64 v[4:5], 4, v[16:17]
	v_lshlrev_b64 v[6:7], 4, v[20:21]
	v_cmp_gt_i64_e32 vcc, s[12:13], v[4:5]
	v_cmp_gt_i64_e64 s[0:1], s[14:15], v[6:7]
	s_mov_b32 s11, 0
	s_and_b64 s[0:1], vcc, s[0:1]
	s_and_saveexec_b64 s[2:3], s[0:1]
	s_cbranch_execz .LBB50_37
; %bb.1:
	s_load_dwordx2 s[0:1], s[4:5], 0x4
	s_load_dwordx8 s[36:43], s[6:7], 0x78
	s_load_dwordx4 s[28:31], s[6:7], 0x98
	v_bfe_u32 v0, v0, 20, 10
	v_bfe_u32 v10, v1, 2, 4
	s_waitcnt lgkmcnt(0)
	s_lshr_b32 s0, s0, 16
	s_mul_i32 s0, s0, s1
	v_mul_u32_u24_e32 v2, s1, v8
	v_mul_lo_u32 v8, s0, v1
	v_add3_u32 v0, v8, v2, v0
	v_add_co_u32_e32 v8, vcc, 16, v4
	v_addc_co_u32_e32 v9, vcc, 0, v5, vcc
	s_and_b32 s0, s12, 15
	v_mul_lo_u32 v30, v0, 20
	v_mov_b32_e32 v0, s0
	v_cmp_lt_u64_e32 vcc, s[12:13], v[8:9]
	v_cndmask_b32_e32 v2, 16, v0, vcc
	v_add_co_u32_e32 v8, vcc, 16, v6
	s_load_dwordx2 s[12:13], s[18:19], 0x0
	s_load_dwordx2 s[8:9], s[36:37], 0x0
	v_addc_co_u32_e32 v9, vcc, 0, v7, vcc
	s_and_b32 s0, s14, 15
	v_mov_b32_e32 v0, s0
	v_cmp_lt_u64_e32 vcc, s[14:15], v[8:9]
	v_cndmask_b32_e32 v8, 16, v0, vcc
	v_mov_b32_e32 v9, v3
	v_mov_b32_e32 v11, v3
	v_cmp_lt_i64_e64 s[0:1], s[16:17], 1
	v_and_b32_e32 v15, 63, v1
	v_and_b32_e32 v28, 3, v1
	s_and_b64 vcc, exec, s[0:1]
	v_cmp_lt_u64_e64 s[0:1], v[10:11], v[8:9]
	v_mbcnt_lo_u32_b32 v29, -1, 0
	v_mov_b32_e32 v13, v3
	v_mov_b32_e32 v0, v3
	;; [unrolled: 1-line block ×8, first 2 shown]
	ds_write2_b32 v30, v3, v3 offset0:2 offset1:3
	ds_write2_b32 v30, v3, v3 offset1:1
	ds_write_b32 v30, v3 offset:16
	s_cbranch_vccnz .LBB50_29
; %bb.2:
	s_load_dwordx2 s[34:35], s[6:7], 0x0
	s_load_dwordx8 s[44:51], s[6:7], 0x50
	s_lshl_b64 s[2:3], s[10:11], 3
	s_add_u32 s4, s20, s2
	s_addc_u32 s5, s21, s3
	v_lshrrev_b32_e32 v14, 4, v15
	s_waitcnt lgkmcnt(0)
	s_add_u32 s2, s44, s2
	s_addc_u32 s3, s45, s3
	s_cmpk_lg_i32 s34, 0x6f
	s_cselect_b64 s[14:15], -1, 0
	s_cmpk_lg_i32 s35, 0x6f
	s_cselect_b64 s[18:19], -1, 0
	s_cmpk_eq_i32 s35, 0x6f
	s_cselect_b32 s11, s50, s48
	s_cselect_b32 s33, s51, s49
	s_cmpk_eq_i32 s34, 0x6f
	s_cselect_b32 s44, s24, s26
	s_cselect_b32 s45, s25, s27
	v_mul_lo_u32 v18, s45, v16
	v_mul_lo_u32 v17, s44, v17
	v_mad_u64_u32 v[12:13], s[44:45], s44, v16, 0
	v_add3_u32 v13, v13, v17, v18
	v_mad_u64_u32 v[16:17], s[44:45], s26, v14, 0
	v_mov_b32_e32 v18, v17
	v_mad_u64_u32 v[18:19], s[44:45], s27, v14, v[18:19]
	v_mov_b32_e32 v17, v18
	v_lshlrev_b64 v[12:13], 7, v[12:13]
	v_lshlrev_b64 v[16:17], 3, v[16:17]
	v_and_b32_e32 v0, 15, v15
	v_add_co_u32_e32 v22, vcc, v12, v16
	s_load_dwordx2 s[52:53], s[4:5], 0x0
	v_addc_co_u32_e32 v23, vcc, v13, v17, vcc
	v_mad_u64_u32 v[16:17], s[44:45], s24, v0, 0
	v_mov_b32_e32 v18, v17
	s_cmpk_eq_i32 s34, 0x71
	v_mad_u64_u32 v[18:19], s[44:45], s25, v0, v[18:19]
	s_cselect_b64 s[20:21], -1, 0
	s_cmpk_eq_i32 s35, 0x71
	v_mov_b32_e32 v17, v18
	s_cselect_b64 s[34:35], -1, 0
	v_lshlrev_b64 v[16:17], 3, v[16:17]
	s_lshl_b64 s[22:23], s[22:23], 3
	v_add_co_u32_e32 v16, vcc, v22, v16
	s_waitcnt lgkmcnt(0)
	s_add_u32 s52, s52, s22
	v_addc_co_u32_e32 v17, vcc, v23, v17, vcc
	s_addc_u32 s53, s53, s23
	v_mov_b32_e32 v18, s53
	v_add_co_u32_e32 v16, vcc, s52, v16
	v_addc_co_u32_e32 v17, vcc, v18, v17, vcc
	v_mad_u64_u32 v[18:19], s[44:45], s26, v10, 0
	v_mov_b32_e32 v22, v19
	s_lshl_b64 s[22:23], s[26:27], 5
	v_mad_u64_u32 v[22:23], s[26:27], s27, v10, v[22:23]
	v_mov_b32_e32 v19, v22
	v_lshlrev_b64 v[18:19], 3, v[18:19]
	v_add_co_u32_e32 v22, vcc, v12, v18
	v_addc_co_u32_e32 v23, vcc, v13, v19, vcc
	v_mad_u64_u32 v[12:13], s[26:27], s24, v28, 0
	v_mov_b32_e32 v18, v13
	v_mad_u64_u32 v[18:19], s[26:27], s25, v28, v[18:19]
	v_mov_b32_e32 v13, v18
	v_lshlrev_b64 v[12:13], 3, v[12:13]
	v_add_co_u32_e32 v12, vcc, v22, v12
	v_addc_co_u32_e32 v13, vcc, v23, v13, vcc
	v_mov_b32_e32 v19, s53
	v_add_co_u32_e32 v18, vcc, s52, v12
	v_addc_co_u32_e32 v19, vcc, v19, v13, vcc
	v_mul_lo_u32 v22, s33, v20
	v_mul_lo_u32 v21, s11, v21
	v_mad_u64_u32 v[12:13], s[26:27], s11, v20, 0
	v_add3_u32 v13, v13, v21, v22
	v_mad_u64_u32 v[20:21], s[26:27], s50, v10, 0
	v_mov_b32_e32 v22, v21
	v_mad_u64_u32 v[22:23], s[26:27], s51, v10, v[22:23]
	v_mov_b32_e32 v21, v22
	v_lshlrev_b64 v[12:13], 7, v[12:13]
	v_lshlrev_b64 v[20:21], 3, v[20:21]
	v_add_co_u32_e32 v24, vcc, v12, v20
	s_load_dwordx2 s[36:37], s[2:3], 0x0
	v_addc_co_u32_e32 v25, vcc, v13, v21, vcc
	v_mad_u64_u32 v[20:21], s[26:27], s48, v28, 0
	v_mov_b32_e32 v22, v21
	v_mad_u64_u32 v[22:23], s[26:27], s49, v28, v[22:23]
	v_mov_b32_e32 v21, v22
	s_lshl_b64 s[24:25], s[24:25], 5
	v_lshlrev_b64 v[20:21], 3, v[20:21]
	s_lshl_b64 s[26:27], s[46:47], 3
	v_add_co_u32_e32 v20, vcc, v24, v20
	s_waitcnt lgkmcnt(0)
	s_add_u32 s11, s36, s26
	v_addc_co_u32_e32 v21, vcc, v25, v21, vcc
	s_addc_u32 s33, s37, s27
	v_mov_b32_e32 v22, s33
	v_add_co_u32_e32 v20, vcc, s11, v20
	v_addc_co_u32_e32 v21, vcc, v22, v21, vcc
	v_mad_u64_u32 v[22:23], s[36:37], s50, v14, 0
	v_mov_b32_e32 v24, v23
	v_mad_u64_u32 v[24:25], s[36:37], s51, v14, v[24:25]
	v_mov_b32_e32 v23, v24
	v_lshlrev_b64 v[22:23], 3, v[22:23]
	v_add_co_u32_e32 v24, vcc, v12, v22
	v_addc_co_u32_e32 v25, vcc, v13, v23, vcc
	v_mad_u64_u32 v[12:13], s[36:37], s48, v0, 0
	v_mov_b32_e32 v22, v13
	v_mad_u64_u32 v[22:23], s[36:37], s49, v0, v[22:23]
	v_mov_b32_e32 v13, v22
	v_mov_b32_e32 v1, 0
	v_lshlrev_b64 v[12:13], 3, v[12:13]
	v_lshl_or_b32 v26, v0, 2, v14
	v_cmp_lt_u64_e64 s[4:5], v[0:1], v[2:3]
	v_cmp_lt_u64_e64 s[6:7], v[0:1], v[8:9]
	v_add_co_u32_e32 v0, vcc, v24, v12
	v_addc_co_u32_e32 v12, vcc, v25, v13, vcc
	v_add_co_u32_e32 v22, vcc, s11, v0
	v_mbcnt_hi_u32_b32 v0, -1, v29
	v_mov_b32_e32 v13, s33
	v_and_or_b32 v0, v0, 64, v26
	v_cmp_lt_u64_e64 s[2:3], v[10:11], v[2:3]
	s_lshl_b64 s[26:27], s[48:49], 5
	v_addc_co_u32_e32 v23, vcc, v13, v12, vcc
	s_lshl_b64 s[36:37], s[50:51], 5
	s_mov_b64 s[44:45], 0
	v_lshlrev_b32_e32 v31, 2, v0
	v_mov_b32_e32 v12, v1
	v_mov_b32_e32 v0, v1
	;; [unrolled: 1-line block ×3, first 2 shown]
	s_branch .LBB50_6
.LBB50_3:                               ;   in Loop: Header=BB50_6 Depth=1
	s_or_b64 exec, exec, s[48:49]
.LBB50_4:                               ;   in Loop: Header=BB50_6 Depth=1
	s_or_b64 exec, exec, s[46:47]
	s_waitcnt vmcnt(0)
	ds_bpermute_b32 v26, v31, v26
	ds_bpermute_b32 v27, v31, v27
.LBB50_5:                               ;   in Loop: Header=BB50_6 Depth=1
	s_waitcnt vmcnt(0) lgkmcnt(0)
	v_cndmask_b32_e64 v50, v25, -v25, s[20:21]
	v_cndmask_b32_e64 v27, v27, -v27, s[34:35]
	v_mfma_f32_16x16x4f32 v[32:35], v24, v26, 0
	v_add_co_u32_e32 v16, vcc, s22, v16
	s_add_u32 s44, s44, 4
	s_addc_u32 s45, s45, 0
	v_mfma_f32_16x16x4f32 v[40:43], v50, v27, 0
	v_mfma_f32_16x16x4f32 v[36:39], v24, v27, 0
	ds_read2_b32 v[24:25], v30 offset1:1
	ds_read2_b32 v[44:45], v30 offset0:3 offset1:4
	ds_read2_b32 v[46:47], v30 offset0:2 offset1:3
	;; [unrolled: 1-line block ×3, first 2 shown]
	s_nop 5
	v_sub_f32_e32 v35, v35, v43
	v_sub_f32_e32 v34, v34, v42
	v_sub_f32_e32 v33, v33, v41
	v_sub_f32_e32 v32, v32, v40
	s_waitcnt lgkmcnt(1)
	v_mov_b32_e32 v25, v46
	v_pk_add_f32 v[24:25], v[24:25], v[32:33]
	v_pk_add_f32 v[12:13], v[12:13], v[34:35]
	v_mfma_f32_16x16x4f32 v[32:35], v50, v26, 0
	s_waitcnt lgkmcnt(0)
	v_mov_b32_e32 v49, v44
	s_nop 7
	s_nop 0
	v_pk_add_f32 v[26:27], v[38:39], v[34:35]
	v_pk_add_f32 v[32:33], v[36:37], v[32:33]
	;; [unrolled: 1-line block ×4, first 2 shown]
	ds_write2_b32 v30, v24, v26 offset1:1
	ds_write2_b32 v30, v25, v27 offset0:2 offset1:3
	ds_write_b32 v30, v12 offset:16
	v_mov_b32_e32 v24, s23
	v_addc_co_u32_e32 v17, vcc, v17, v24, vcc
	v_mov_b32_e32 v24, s25
	v_add_co_u32_e32 v18, vcc, s24, v18
	v_addc_co_u32_e32 v19, vcc, v19, v24, vcc
	v_mov_b32_e32 v24, s27
	v_add_co_u32_e32 v20, vcc, s26, v20
	;; [unrolled: 3-line block ×3, first 2 shown]
	v_addc_co_u32_e32 v23, vcc, v23, v24, vcc
	v_pk_mov_b32 v[32:33], s[16:17], s[16:17] op_sel:[0,1]
	v_cmp_ge_i64_e32 vcc, s[44:45], v[32:33]
	s_cbranch_vccnz .LBB50_28
.LBB50_6:                               ; =>This Inner Loop Header: Depth=1
	s_and_b64 vcc, exec, s[14:15]
	s_cbranch_vccz .LBB50_18
; %bb.7:                                ;   in Loop: Header=BB50_6 Depth=1
	v_mov_b32_e32 v24, 0
	v_mov_b32_e32 v25, 0
	s_and_saveexec_b64 s[46:47], s[2:3]
	s_cbranch_execz .LBB50_11
; %bb.8:                                ;   in Loop: Header=BB50_6 Depth=1
	v_mov_b32_e32 v25, s45
	v_add_co_u32_e32 v24, vcc, s44, v28
	v_addc_co_u32_e32 v25, vcc, 0, v25, vcc
	v_cmp_gt_i64_e32 vcc, s[16:17], v[24:25]
	v_mov_b32_e32 v25, 0
	v_mov_b32_e32 v24, 0
	s_and_saveexec_b64 s[48:49], vcc
	s_cbranch_execz .LBB50_10
; %bb.9:                                ;   in Loop: Header=BB50_6 Depth=1
	global_load_dwordx2 v[24:25], v[18:19], off
.LBB50_10:                              ;   in Loop: Header=BB50_6 Depth=1
	s_or_b64 exec, exec, s[48:49]
.LBB50_11:                              ;   in Loop: Header=BB50_6 Depth=1
	s_or_b64 exec, exec, s[46:47]
	s_waitcnt vmcnt(0)
	ds_bpermute_b32 v24, v31, v24
	ds_bpermute_b32 v25, v31, v25
.LBB50_12:                              ;   in Loop: Header=BB50_6 Depth=1
	s_and_b64 vcc, exec, s[18:19]
	s_cbranch_vccz .LBB50_24
.LBB50_13:                              ;   in Loop: Header=BB50_6 Depth=1
	v_mov_b32_e32 v27, 0
	v_mov_b32_e32 v26, 0
	s_and_saveexec_b64 s[46:47], s[6:7]
	s_cbranch_execz .LBB50_17
; %bb.14:                               ;   in Loop: Header=BB50_6 Depth=1
	v_mov_b32_e32 v27, s45
	v_add_co_u32_e32 v26, vcc, s44, v14
	v_addc_co_u32_e32 v27, vcc, 0, v27, vcc
	v_cmp_gt_i64_e32 vcc, s[16:17], v[26:27]
	v_mov_b32_e32 v27, 0
	v_mov_b32_e32 v26, 0
	s_and_saveexec_b64 s[48:49], vcc
	s_cbranch_execz .LBB50_16
; %bb.15:                               ;   in Loop: Header=BB50_6 Depth=1
	global_load_dwordx2 v[26:27], v[22:23], off
.LBB50_16:                              ;   in Loop: Header=BB50_6 Depth=1
	s_or_b64 exec, exec, s[48:49]
.LBB50_17:                              ;   in Loop: Header=BB50_6 Depth=1
	s_or_b64 exec, exec, s[46:47]
	s_cbranch_execnz .LBB50_5
	s_branch .LBB50_25
.LBB50_18:                              ;   in Loop: Header=BB50_6 Depth=1
                                        ; implicit-def: $vgpr25
	s_cbranch_execz .LBB50_12
; %bb.19:                               ;   in Loop: Header=BB50_6 Depth=1
	s_waitcnt lgkmcnt(0)
	v_mov_b32_e32 v25, 0
	v_mov_b32_e32 v24, 0
	s_and_saveexec_b64 s[46:47], s[4:5]
	s_cbranch_execz .LBB50_23
; %bb.20:                               ;   in Loop: Header=BB50_6 Depth=1
	v_mov_b32_e32 v25, s45
	v_add_co_u32_e32 v24, vcc, s44, v14
	v_addc_co_u32_e32 v25, vcc, 0, v25, vcc
	v_cmp_gt_i64_e32 vcc, s[16:17], v[24:25]
	v_mov_b32_e32 v25, 0
	v_mov_b32_e32 v24, 0
	s_and_saveexec_b64 s[48:49], vcc
	s_cbranch_execz .LBB50_22
; %bb.21:                               ;   in Loop: Header=BB50_6 Depth=1
	global_load_dwordx2 v[24:25], v[16:17], off
.LBB50_22:                              ;   in Loop: Header=BB50_6 Depth=1
	s_or_b64 exec, exec, s[48:49]
.LBB50_23:                              ;   in Loop: Header=BB50_6 Depth=1
	s_or_b64 exec, exec, s[46:47]
	s_and_b64 vcc, exec, s[18:19]
	s_cbranch_vccnz .LBB50_13
.LBB50_24:                              ;   in Loop: Header=BB50_6 Depth=1
                                        ; implicit-def: $vgpr27
.LBB50_25:                              ;   in Loop: Header=BB50_6 Depth=1
	s_waitcnt vmcnt(0)
	v_mov_b32_e32 v26, 0
	v_mov_b32_e32 v27, 0
	s_and_saveexec_b64 s[46:47], s[0:1]
	s_cbranch_execz .LBB50_4
; %bb.26:                               ;   in Loop: Header=BB50_6 Depth=1
	v_mov_b32_e32 v27, s45
	v_add_co_u32_e32 v26, vcc, s44, v28
	v_addc_co_u32_e32 v27, vcc, 0, v27, vcc
	v_cmp_gt_i64_e32 vcc, s[16:17], v[26:27]
	v_mov_b32_e32 v27, 0
	v_mov_b32_e32 v26, 0
	s_and_saveexec_b64 s[48:49], vcc
	s_cbranch_execz .LBB50_3
; %bb.27:                               ;   in Loop: Header=BB50_6 Depth=1
	global_load_dwordx2 v[26:27], v[20:21], off
	s_branch .LBB50_3
.LBB50_28:
	ds_read_b32 v18, v30
.LBB50_29:
	s_mul_i32 s0, s10, s31
	s_mul_hi_u32 s1, s10, s30
	s_add_i32 s1, s1, s0
	s_mul_i32 s0, s10, s30
	s_lshl_b64 s[0:1], s[0:1], 3
	s_add_u32 s2, s38, s0
	s_addc_u32 s3, s39, s1
	s_lshl_b64 s[0:1], s[40:41], 3
	s_add_u32 s2, s2, s0
	s_addc_u32 s3, s3, s1
	v_mul_lo_u32 v14, v7, s28
	v_mul_lo_u32 v16, v6, s29
	v_mad_u64_u32 v[6:7], s[0:1], v6, s28, 0
	v_add3_u32 v7, v7, v16, v14
	v_mul_lo_u32 v14, v5, s42
	v_mul_lo_u32 v16, v4, s43
	v_mad_u64_u32 v[4:5], s[0:1], v4, s42, 0
	v_lshlrev_b64 v[6:7], 3, v[6:7]
	v_add3_u32 v5, v5, v16, v14
	v_mov_b32_e32 v14, s3
	v_add_co_u32_e32 v6, vcc, s2, v6
	v_addc_co_u32_e32 v7, vcc, v14, v7, vcc
	v_lshlrev_b64 v[4:5], 3, v[4:5]
	v_add_co_u32_e32 v16, vcc, v6, v4
	v_lshl_or_b32 v6, v15, 4, v10
	v_addc_co_u32_e32 v17, vcc, v7, v5, vcc
	v_mbcnt_hi_u32_b32 v7, -1, v29
	v_and_b32_e32 v6, 63, v6
	v_and_or_b32 v6, v7, 64, v6
	v_lshlrev_b32_e32 v14, 2, v6
	v_mad_u64_u32 v[6:7], s[0:1], v10, s28, 0
	v_cmp_lt_u64_e32 vcc, v[10:11], v[8:9]
	v_mov_b32_e32 v8, v7
	v_mad_u64_u32 v[8:9], s[0:1], v10, s29, v[8:9]
	v_mov_b32_e32 v7, v8
	v_lshlrev_b64 v[8:9], 3, v[6:7]
	s_waitcnt lgkmcnt(0)
	ds_bpermute_b32 v6, v14, v18
	ds_bpermute_b32 v7, v14, v26
	v_add_co_u32_e64 v10, s[0:1], v16, v8
	v_lshlrev_b32_e32 v4, 2, v28
	v_mov_b32_e32 v5, 0
	v_addc_co_u32_e64 v11, s[0:1], v17, v9, s[0:1]
	v_cmp_lt_u64_e64 s[0:1], v[4:5], v[2:3]
	s_and_b64 s[0:1], vcc, s[0:1]
	s_and_saveexec_b64 s[2:3], s[0:1]
	s_cbranch_execz .LBB50_31
; %bb.30:
	v_mad_u64_u32 v[8:9], s[0:1], v4, s42, 0
	v_mov_b32_e32 v16, v9
	v_mad_u64_u32 v[16:17], s[0:1], v4, s43, v[16:17]
	v_mov_b32_e32 v9, v16
	v_lshlrev_b64 v[8:9], 3, v[8:9]
	v_add_co_u32_e64 v8, s[0:1], v10, v8
	v_addc_co_u32_e64 v9, s[0:1], v11, v9, s[0:1]
	global_load_dwordx2 v[16:17], v[8:9], off
	s_waitcnt lgkmcnt(0)
	v_pk_mul_f32 v[18:19], s[12:13], v[6:7]
	v_mul_f32_e32 v7, s12, v7
	v_fmac_f32_e32 v7, s13, v6
	v_sub_f32_e32 v15, v18, v19
	s_waitcnt vmcnt(0)
	v_mul_f32_e32 v6, s9, v17
	v_mul_f32_e32 v17, s8, v17
	v_fma_f32 v6, s8, v16, -v6
	v_fmac_f32_e32 v17, s9, v16
	v_add_f32_e32 v6, v15, v6
	v_add_f32_e32 v7, v7, v17
	global_store_dwordx2 v[8:9], v[6:7], off
.LBB50_31:
	s_or_b64 exec, exec, s[2:3]
	s_waitcnt lgkmcnt(1)
	ds_bpermute_b32 v6, v14, v25
	s_waitcnt lgkmcnt(1)
	ds_bpermute_b32 v7, v14, v27
	v_or_b32_e32 v8, 1, v4
	v_mov_b32_e32 v9, v5
	v_cmp_lt_u64_e64 s[0:1], v[8:9], v[2:3]
	s_and_b64 s[0:1], vcc, s[0:1]
	s_and_saveexec_b64 s[2:3], s[0:1]
	s_cbranch_execz .LBB50_33
; %bb.32:
	v_mad_u64_u32 v[16:17], s[0:1], v8, s42, 0
	v_mov_b32_e32 v18, v17
	v_mad_u64_u32 v[8:9], s[0:1], v8, s43, v[18:19]
	v_mov_b32_e32 v17, v8
	v_lshlrev_b64 v[8:9], 3, v[16:17]
	v_add_co_u32_e64 v8, s[0:1], v10, v8
	v_addc_co_u32_e64 v9, s[0:1], v11, v9, s[0:1]
	global_load_dwordx2 v[16:17], v[8:9], off
	s_waitcnt lgkmcnt(1)
	v_mul_f32_e32 v15, s13, v6
	s_waitcnt lgkmcnt(0)
	v_pk_mul_f32 v[18:19], s[12:13], v[6:7]
	v_fmac_f32_e32 v15, s12, v7
	v_sub_f32_e32 v6, v18, v19
	s_waitcnt vmcnt(0)
	v_mul_f32_e32 v7, s9, v17
	v_mul_f32_e32 v17, s8, v17
	v_fma_f32 v7, s8, v16, -v7
	v_fmac_f32_e32 v17, s9, v16
	v_add_f32_e32 v6, v6, v7
	v_add_f32_e32 v7, v15, v17
	global_store_dwordx2 v[8:9], v[6:7], off
.LBB50_33:
	s_or_b64 exec, exec, s[2:3]
	s_waitcnt lgkmcnt(1)
	ds_bpermute_b32 v6, v14, v12
	s_waitcnt lgkmcnt(1)
	ds_bpermute_b32 v7, v14, v0
	v_or_b32_e32 v8, 2, v4
	v_mov_b32_e32 v9, v5
	v_cmp_lt_u64_e64 s[0:1], v[8:9], v[2:3]
	s_and_b64 s[0:1], vcc, s[0:1]
	s_and_saveexec_b64 s[2:3], s[0:1]
	s_cbranch_execz .LBB50_35
; %bb.34:
	v_mad_u64_u32 v[16:17], s[0:1], v8, s42, 0
	v_mov_b32_e32 v0, v17
	v_mad_u64_u32 v[8:9], s[0:1], v8, s43, v[0:1]
	v_mov_b32_e32 v17, v8
	v_lshlrev_b64 v[8:9], 3, v[16:17]
	v_add_co_u32_e64 v8, s[0:1], v10, v8
	v_addc_co_u32_e64 v9, s[0:1], v11, v9, s[0:1]
	global_load_dwordx2 v[16:17], v[8:9], off
	s_waitcnt lgkmcnt(1)
	v_mul_f32_e32 v0, s13, v6
	s_waitcnt lgkmcnt(0)
	v_pk_mul_f32 v[18:19], s[12:13], v[6:7]
	v_fmac_f32_e32 v0, s12, v7
	v_sub_f32_e32 v6, v18, v19
	s_waitcnt vmcnt(0)
	v_mul_f32_e32 v7, s9, v17
	v_mul_f32_e32 v12, s8, v17
	v_fma_f32 v7, s8, v16, -v7
	v_fmac_f32_e32 v12, s9, v16
	v_add_f32_e32 v6, v6, v7
	v_add_f32_e32 v7, v0, v12
	global_store_dwordx2 v[8:9], v[6:7], off
.LBB50_35:
	s_or_b64 exec, exec, s[2:3]
	ds_bpermute_b32 v0, v14, v13
	ds_bpermute_b32 v1, v14, v1
	v_or_b32_e32 v4, 3, v4
	v_cmp_lt_u64_e64 s[0:1], v[4:5], v[2:3]
	s_and_b64 s[0:1], vcc, s[0:1]
	s_and_b64 exec, exec, s[0:1]
	s_cbranch_execz .LBB50_37
; %bb.36:
	v_mad_u64_u32 v[2:3], s[0:1], v4, s42, 0
	s_waitcnt lgkmcnt(3)
	v_mov_b32_e32 v6, v3
	s_waitcnt lgkmcnt(2)
	v_mad_u64_u32 v[4:5], s[0:1], v4, s43, v[6:7]
	v_mov_b32_e32 v3, v4
	v_lshlrev_b64 v[2:3], 3, v[2:3]
	v_add_co_u32_e32 v2, vcc, v10, v2
	v_addc_co_u32_e32 v3, vcc, v11, v3, vcc
	global_load_dwordx2 v[4:5], v[2:3], off
	s_waitcnt lgkmcnt(0)
	v_pk_mul_f32 v[6:7], s[12:13], v[0:1]
	v_mov_b32_e32 v6, v1
	s_mov_b32 s0, s13
	v_mov_b32_e32 v8, v7
	v_pk_mul_f32 v[6:7], s[12:13], v[6:7] op_sel_hi:[1,0]
	v_pk_fma_f32 v[8:9], s[12:13], v[0:1], v[8:9] neg_lo:[0,0,1] neg_hi:[0,0,1]
	v_pk_fma_f32 v[0:1], s[0:1], v[0:1], v[6:7]
	s_mov_b32 s2, s9
	s_waitcnt vmcnt(0)
	v_pk_mul_f32 v[6:7], s[8:9], v[4:5]
	v_mov_b32_e32 v6, v5
	v_mov_b32_e32 v10, v7
	v_pk_mul_f32 v[6:7], s[8:9], v[6:7]
	v_pk_fma_f32 v[10:11], s[8:9], v[4:5], v[10:11] neg_lo:[0,0,1] neg_hi:[0,0,1]
	v_pk_fma_f32 v[4:5], s[2:3], v[4:5], v[6:7]
	v_pk_add_f32 v[6:7], v[8:9], v[10:11]
	v_pk_add_f32 v[0:1], v[0:1], v[4:5]
	v_mov_b32_e32 v7, v0
	global_store_dwordx2 v[2:3], v[6:7], off
.LBB50_37:
	s_endpgm
	.section	.rodata,"a",@progbits
	.p2align	6, 0x0
	.amdhsa_kernel _ZN9rocsolver6v33100L16mfma_gemm_kernelI19rocblas_complex_numIfElPKS3_PKPS3_S8_S6_EEv18rocblas_operation_S9_T0_SA_SA_T1_T2_lSA_SA_lT3_lSA_SA_lSB_T4_lSA_SA_l
		.amdhsa_group_segment_fixed_size 20480
		.amdhsa_private_segment_fixed_size 0
		.amdhsa_kernarg_size 424
		.amdhsa_user_sgpr_count 8
		.amdhsa_user_sgpr_private_segment_buffer 1
		.amdhsa_user_sgpr_dispatch_ptr 1
		.amdhsa_user_sgpr_queue_ptr 0
		.amdhsa_user_sgpr_kernarg_segment_ptr 1
		.amdhsa_user_sgpr_dispatch_id 0
		.amdhsa_user_sgpr_flat_scratch_init 0
		.amdhsa_user_sgpr_kernarg_preload_length 0
		.amdhsa_user_sgpr_kernarg_preload_offset 0
		.amdhsa_user_sgpr_private_segment_size 0
		.amdhsa_uses_dynamic_stack 0
		.amdhsa_system_sgpr_private_segment_wavefront_offset 0
		.amdhsa_system_sgpr_workgroup_id_x 1
		.amdhsa_system_sgpr_workgroup_id_y 1
		.amdhsa_system_sgpr_workgroup_id_z 1
		.amdhsa_system_sgpr_workgroup_info 0
		.amdhsa_system_vgpr_workitem_id 2
		.amdhsa_next_free_vgpr 51
		.amdhsa_next_free_sgpr 54
		.amdhsa_accum_offset 52
		.amdhsa_reserve_vcc 1
		.amdhsa_reserve_flat_scratch 0
		.amdhsa_float_round_mode_32 0
		.amdhsa_float_round_mode_16_64 0
		.amdhsa_float_denorm_mode_32 3
		.amdhsa_float_denorm_mode_16_64 3
		.amdhsa_dx10_clamp 1
		.amdhsa_ieee_mode 1
		.amdhsa_fp16_overflow 0
		.amdhsa_tg_split 0
		.amdhsa_exception_fp_ieee_invalid_op 0
		.amdhsa_exception_fp_denorm_src 0
		.amdhsa_exception_fp_ieee_div_zero 0
		.amdhsa_exception_fp_ieee_overflow 0
		.amdhsa_exception_fp_ieee_underflow 0
		.amdhsa_exception_fp_ieee_inexact 0
		.amdhsa_exception_int_div_zero 0
	.end_amdhsa_kernel
	.section	.text._ZN9rocsolver6v33100L16mfma_gemm_kernelI19rocblas_complex_numIfElPKS3_PKPS3_S8_S6_EEv18rocblas_operation_S9_T0_SA_SA_T1_T2_lSA_SA_lT3_lSA_SA_lSB_T4_lSA_SA_l,"axG",@progbits,_ZN9rocsolver6v33100L16mfma_gemm_kernelI19rocblas_complex_numIfElPKS3_PKPS3_S8_S6_EEv18rocblas_operation_S9_T0_SA_SA_T1_T2_lSA_SA_lT3_lSA_SA_lSB_T4_lSA_SA_l,comdat
.Lfunc_end50:
	.size	_ZN9rocsolver6v33100L16mfma_gemm_kernelI19rocblas_complex_numIfElPKS3_PKPS3_S8_S6_EEv18rocblas_operation_S9_T0_SA_SA_T1_T2_lSA_SA_lT3_lSA_SA_lSB_T4_lSA_SA_l, .Lfunc_end50-_ZN9rocsolver6v33100L16mfma_gemm_kernelI19rocblas_complex_numIfElPKS3_PKPS3_S8_S6_EEv18rocblas_operation_S9_T0_SA_SA_T1_T2_lSA_SA_lT3_lSA_SA_lSB_T4_lSA_SA_l
                                        ; -- End function
	.section	.AMDGPU.csdata,"",@progbits
; Kernel info:
; codeLenInByte = 2672
; NumSgprs: 58
; NumVgprs: 51
; NumAgprs: 0
; TotalNumVgprs: 51
; ScratchSize: 0
; MemoryBound: 0
; FloatMode: 240
; IeeeMode: 1
; LDSByteSize: 20480 bytes/workgroup (compile time only)
; SGPRBlocks: 7
; VGPRBlocks: 6
; NumSGPRsForWavesPerEU: 58
; NumVGPRsForWavesPerEU: 51
; AccumOffset: 52
; Occupancy: 8
; WaveLimiterHint : 1
; COMPUTE_PGM_RSRC2:SCRATCH_EN: 0
; COMPUTE_PGM_RSRC2:USER_SGPR: 8
; COMPUTE_PGM_RSRC2:TRAP_HANDLER: 0
; COMPUTE_PGM_RSRC2:TGID_X_EN: 1
; COMPUTE_PGM_RSRC2:TGID_Y_EN: 1
; COMPUTE_PGM_RSRC2:TGID_Z_EN: 1
; COMPUTE_PGM_RSRC2:TIDIG_COMP_CNT: 2
; COMPUTE_PGM_RSRC3_GFX90A:ACCUM_OFFSET: 12
; COMPUTE_PGM_RSRC3_GFX90A:TG_SPLIT: 0
	.section	.text._ZN9rocsolver6v33100L16mfma_gemm_kernelI19rocblas_complex_numIfElS3_PKPS3_S6_S4_EEv18rocblas_operation_S7_T0_S8_S8_T1_T2_lS8_S8_lT3_lS8_S8_lS9_T4_lS8_S8_l,"axG",@progbits,_ZN9rocsolver6v33100L16mfma_gemm_kernelI19rocblas_complex_numIfElS3_PKPS3_S6_S4_EEv18rocblas_operation_S7_T0_S8_S8_T1_T2_lS8_S8_lT3_lS8_S8_lS9_T4_lS8_S8_l,comdat
	.globl	_ZN9rocsolver6v33100L16mfma_gemm_kernelI19rocblas_complex_numIfElS3_PKPS3_S6_S4_EEv18rocblas_operation_S7_T0_S8_S8_T1_T2_lS8_S8_lT3_lS8_S8_lS9_T4_lS8_S8_l ; -- Begin function _ZN9rocsolver6v33100L16mfma_gemm_kernelI19rocblas_complex_numIfElS3_PKPS3_S6_S4_EEv18rocblas_operation_S7_T0_S8_S8_T1_T2_lS8_S8_lT3_lS8_S8_lS9_T4_lS8_S8_l
	.p2align	8
	.type	_ZN9rocsolver6v33100L16mfma_gemm_kernelI19rocblas_complex_numIfElS3_PKPS3_S6_S4_EEv18rocblas_operation_S7_T0_S8_S8_T1_T2_lS8_S8_lT3_lS8_S8_lS9_T4_lS8_S8_l,@function
_ZN9rocsolver6v33100L16mfma_gemm_kernelI19rocblas_complex_numIfElS3_PKPS3_S6_S4_EEv18rocblas_operation_S7_T0_S8_S8_T1_T2_lS8_S8_lT3_lS8_S8_lS9_T4_lS8_S8_l: ; @_ZN9rocsolver6v33100L16mfma_gemm_kernelI19rocblas_complex_numIfElS3_PKPS3_S6_S4_EEv18rocblas_operation_S7_T0_S8_S8_T1_T2_lS8_S8_lT3_lS8_S8_lS9_T4_lS8_S8_l
; %bb.0:
	s_load_dword s0, s[6:7], 0xb4
	s_load_dwordx4 s[12:15], s[6:7], 0x8
	v_and_b32_e32 v1, 0x3ff, v0
	v_lshrrev_b32_e32 v2, 6, v1
	v_mov_b32_e32 v3, 0
	s_waitcnt lgkmcnt(0)
	s_lshr_b32 s2, s0, 16
	s_bfe_u32 s0, s0, 0xa0006
	v_mov_b32_e32 v4, s8
	v_bfe_u32 v8, v0, 10, 10
	v_mov_b32_e32 v9, v3
	v_mad_u64_u32 v[16:17], s[0:1], s0, v4, v[2:3]
	v_mov_b32_e32 v2, s9
	v_mad_u64_u32 v[20:21], s[0:1], s2, v2, v[8:9]
	v_lshlrev_b64 v[4:5], 4, v[16:17]
	v_lshlrev_b64 v[6:7], 4, v[20:21]
	v_cmp_gt_i64_e32 vcc, s[12:13], v[4:5]
	v_cmp_gt_i64_e64 s[0:1], s[14:15], v[6:7]
	s_mov_b32 s11, 0
	s_and_b64 s[0:1], vcc, s[0:1]
	s_and_saveexec_b64 s[2:3], s[0:1]
	s_cbranch_execz .LBB51_37
; %bb.1:
	s_load_dwordx2 s[0:1], s[4:5], 0x4
	v_bfe_u32 v0, v0, 20, 10
	s_load_dwordx4 s[28:31], s[6:7], 0x18
	s_load_dwordx2 s[34:35], s[6:7], 0x78
	v_bfe_u32 v10, v1, 2, 4
	v_mov_b32_e32 v11, v3
	s_waitcnt lgkmcnt(0)
	s_lshr_b32 s0, s0, 16
	s_mul_i32 s0, s0, s1
	v_mul_u32_u24_e32 v2, s1, v8
	v_mul_lo_u32 v8, s0, v1
	v_add3_u32 v0, v8, v2, v0
	v_add_co_u32_e32 v8, vcc, 16, v4
	v_addc_co_u32_e32 v9, vcc, 0, v5, vcc
	s_and_b32 s0, s12, 15
	v_mul_lo_u32 v30, v0, 20
	v_mov_b32_e32 v0, s0
	v_cmp_lt_u64_e32 vcc, s[12:13], v[8:9]
	v_cndmask_b32_e32 v2, 16, v0, vcc
	v_add_co_u32_e32 v8, vcc, 16, v6
	v_addc_co_u32_e32 v9, vcc, 0, v7, vcc
	s_and_b32 s0, s14, 15
	v_mov_b32_e32 v0, s0
	v_cmp_lt_u64_e32 vcc, s[14:15], v[8:9]
	v_cndmask_b32_e32 v8, 16, v0, vcc
	v_mov_b32_e32 v9, v3
	v_cmp_lt_i64_e64 s[0:1], s[28:29], 1
	v_and_b32_e32 v15, 63, v1
	v_and_b32_e32 v28, 3, v1
	s_and_b64 vcc, exec, s[0:1]
	v_cmp_lt_u64_e64 s[0:1], v[10:11], v[8:9]
	v_mbcnt_lo_u32_b32 v29, -1, 0
	v_mov_b32_e32 v13, v3
	v_mov_b32_e32 v0, v3
	;; [unrolled: 1-line block ×8, first 2 shown]
	ds_write2_b32 v30, v3, v3 offset0:2 offset1:3
	ds_write2_b32 v30, v3, v3 offset1:1
	ds_write_b32 v30, v3 offset:16
	s_cbranch_vccnz .LBB51_29
; %bb.2:
	s_load_dwordx8 s[20:27], s[6:7], 0x28
	s_load_dwordx2 s[38:39], s[6:7], 0x0
	s_load_dwordx8 s[12:19], s[6:7], 0x50
	s_lshl_b64 s[2:3], s[10:11], 3
	v_lshrrev_b32_e32 v14, 4, v15
	s_waitcnt lgkmcnt(0)
	s_add_u32 s4, s20, s2
	s_addc_u32 s5, s21, s3
	s_add_u32 s2, s12, s2
	s_addc_u32 s3, s13, s3
	s_cmpk_lg_i32 s38, 0x6f
	s_cselect_b64 s[12:13], -1, 0
	s_cmpk_lg_i32 s39, 0x6f
	s_cselect_b64 s[20:21], -1, 0
	s_cmpk_eq_i32 s39, 0x6f
	s_cselect_b32 s11, s18, s16
	s_cselect_b32 s33, s19, s17
	s_cmpk_eq_i32 s38, 0x6f
	s_cselect_b32 s44, s24, s26
	s_cselect_b32 s45, s25, s27
	v_mul_lo_u32 v18, s45, v16
	v_mul_lo_u32 v17, s44, v17
	v_mad_u64_u32 v[12:13], s[44:45], s44, v16, 0
	v_add3_u32 v13, v13, v17, v18
	v_mad_u64_u32 v[16:17], s[44:45], s26, v14, 0
	v_mov_b32_e32 v18, v17
	v_mad_u64_u32 v[18:19], s[44:45], s27, v14, v[18:19]
	v_mov_b32_e32 v17, v18
	v_lshlrev_b64 v[12:13], 7, v[12:13]
	v_lshlrev_b64 v[16:17], 3, v[16:17]
	v_and_b32_e32 v0, 15, v15
	v_add_co_u32_e32 v22, vcc, v12, v16
	s_load_dwordx2 s[42:43], s[4:5], 0x0
	v_addc_co_u32_e32 v23, vcc, v13, v17, vcc
	v_mad_u64_u32 v[16:17], s[44:45], s24, v0, 0
	v_mov_b32_e32 v18, v17
	s_cmpk_eq_i32 s38, 0x71
	v_mad_u64_u32 v[18:19], s[44:45], s25, v0, v[18:19]
	s_cselect_b64 s[36:37], -1, 0
	s_cmpk_eq_i32 s39, 0x71
	v_mov_b32_e32 v17, v18
	s_cselect_b64 s[38:39], -1, 0
	v_lshlrev_b64 v[16:17], 3, v[16:17]
	s_lshl_b64 s[22:23], s[22:23], 3
	v_add_co_u32_e32 v16, vcc, v22, v16
	s_waitcnt lgkmcnt(0)
	s_add_u32 s44, s42, s22
	v_addc_co_u32_e32 v17, vcc, v23, v17, vcc
	s_addc_u32 s45, s43, s23
	v_mov_b32_e32 v18, s45
	v_add_co_u32_e32 v16, vcc, s44, v16
	v_addc_co_u32_e32 v17, vcc, v18, v17, vcc
	v_mad_u64_u32 v[18:19], s[42:43], s26, v10, 0
	v_mov_b32_e32 v22, v19
	s_lshl_b64 s[22:23], s[26:27], 5
	v_mad_u64_u32 v[22:23], s[26:27], s27, v10, v[22:23]
	v_mov_b32_e32 v19, v22
	v_lshlrev_b64 v[18:19], 3, v[18:19]
	v_add_co_u32_e32 v22, vcc, v12, v18
	v_addc_co_u32_e32 v23, vcc, v13, v19, vcc
	v_mad_u64_u32 v[12:13], s[26:27], s24, v28, 0
	v_mov_b32_e32 v18, v13
	v_mad_u64_u32 v[18:19], s[26:27], s25, v28, v[18:19]
	v_mov_b32_e32 v13, v18
	v_lshlrev_b64 v[12:13], 3, v[12:13]
	v_add_co_u32_e32 v12, vcc, v22, v12
	v_addc_co_u32_e32 v13, vcc, v23, v13, vcc
	v_mov_b32_e32 v19, s45
	v_add_co_u32_e32 v18, vcc, s44, v12
	v_addc_co_u32_e32 v19, vcc, v19, v13, vcc
	v_mul_lo_u32 v22, s33, v20
	v_mul_lo_u32 v21, s11, v21
	v_mad_u64_u32 v[12:13], s[26:27], s11, v20, 0
	v_add3_u32 v13, v13, v21, v22
	v_mad_u64_u32 v[20:21], s[26:27], s18, v10, 0
	v_mov_b32_e32 v22, v21
	v_mad_u64_u32 v[22:23], s[26:27], s19, v10, v[22:23]
	v_mov_b32_e32 v21, v22
	v_lshlrev_b64 v[12:13], 7, v[12:13]
	v_lshlrev_b64 v[20:21], 3, v[20:21]
	v_add_co_u32_e32 v24, vcc, v12, v20
	s_load_dwordx2 s[40:41], s[2:3], 0x0
	v_addc_co_u32_e32 v25, vcc, v13, v21, vcc
	v_mad_u64_u32 v[20:21], s[26:27], s16, v28, 0
	v_mov_b32_e32 v22, v21
	v_mad_u64_u32 v[22:23], s[26:27], s17, v28, v[22:23]
	v_mov_b32_e32 v21, v22
	s_lshl_b64 s[24:25], s[24:25], 5
	v_lshlrev_b64 v[20:21], 3, v[20:21]
	s_lshl_b64 s[14:15], s[14:15], 3
	v_add_co_u32_e32 v20, vcc, v24, v20
	s_waitcnt lgkmcnt(0)
	s_add_u32 s11, s40, s14
	v_addc_co_u32_e32 v21, vcc, v25, v21, vcc
	s_addc_u32 s33, s41, s15
	v_mov_b32_e32 v22, s33
	v_add_co_u32_e32 v20, vcc, s11, v20
	v_addc_co_u32_e32 v21, vcc, v22, v21, vcc
	v_mad_u64_u32 v[22:23], s[26:27], s18, v14, 0
	v_mov_b32_e32 v24, v23
	v_mad_u64_u32 v[24:25], s[26:27], s19, v14, v[24:25]
	v_mov_b32_e32 v23, v24
	v_lshlrev_b64 v[22:23], 3, v[22:23]
	v_add_co_u32_e32 v24, vcc, v12, v22
	v_addc_co_u32_e32 v25, vcc, v13, v23, vcc
	v_mad_u64_u32 v[12:13], s[26:27], s16, v0, 0
	v_mov_b32_e32 v22, v13
	s_lshl_b64 s[14:15], s[16:17], 5
	v_mad_u64_u32 v[22:23], s[16:17], s17, v0, v[22:23]
	v_mov_b32_e32 v13, v22
	v_mov_b32_e32 v1, 0
	v_lshlrev_b64 v[12:13], 3, v[12:13]
	v_lshl_or_b32 v26, v0, 2, v14
	v_cmp_lt_u64_e64 s[4:5], v[0:1], v[2:3]
	v_cmp_lt_u64_e64 s[8:9], v[0:1], v[8:9]
	v_add_co_u32_e32 v0, vcc, v24, v12
	v_addc_co_u32_e32 v12, vcc, v25, v13, vcc
	v_add_co_u32_e32 v22, vcc, s11, v0
	v_mbcnt_hi_u32_b32 v0, -1, v29
	v_mov_b32_e32 v13, s33
	v_and_or_b32 v0, v0, 64, v26
	v_cmp_lt_u64_e64 s[2:3], v[10:11], v[2:3]
	v_addc_co_u32_e32 v23, vcc, v13, v12, vcc
	s_lshl_b64 s[16:17], s[18:19], 5
	s_mov_b64 s[18:19], 0
	v_lshlrev_b32_e32 v31, 2, v0
	v_mov_b32_e32 v12, v1
	v_mov_b32_e32 v0, v1
	;; [unrolled: 1-line block ×3, first 2 shown]
	s_branch .LBB51_6
.LBB51_3:                               ;   in Loop: Header=BB51_6 Depth=1
	s_or_b64 exec, exec, s[40:41]
.LBB51_4:                               ;   in Loop: Header=BB51_6 Depth=1
	s_or_b64 exec, exec, s[26:27]
	s_waitcnt vmcnt(0)
	ds_bpermute_b32 v26, v31, v26
	ds_bpermute_b32 v27, v31, v27
.LBB51_5:                               ;   in Loop: Header=BB51_6 Depth=1
	s_waitcnt vmcnt(0) lgkmcnt(0)
	v_cndmask_b32_e64 v50, v25, -v25, s[36:37]
	v_cndmask_b32_e64 v27, v27, -v27, s[38:39]
	v_mfma_f32_16x16x4f32 v[32:35], v24, v26, 0
	v_add_co_u32_e32 v16, vcc, s22, v16
	s_add_u32 s18, s18, 4
	s_addc_u32 s19, s19, 0
	v_mfma_f32_16x16x4f32 v[40:43], v50, v27, 0
	v_mfma_f32_16x16x4f32 v[36:39], v24, v27, 0
	ds_read2_b32 v[24:25], v30 offset1:1
	ds_read2_b32 v[44:45], v30 offset0:3 offset1:4
	ds_read2_b32 v[46:47], v30 offset0:2 offset1:3
	;; [unrolled: 1-line block ×3, first 2 shown]
	s_nop 5
	v_sub_f32_e32 v35, v35, v43
	v_sub_f32_e32 v34, v34, v42
	;; [unrolled: 1-line block ×4, first 2 shown]
	s_waitcnt lgkmcnt(1)
	v_mov_b32_e32 v25, v46
	v_pk_add_f32 v[24:25], v[24:25], v[32:33]
	v_pk_add_f32 v[12:13], v[12:13], v[34:35]
	v_mfma_f32_16x16x4f32 v[32:35], v50, v26, 0
	s_waitcnt lgkmcnt(0)
	v_mov_b32_e32 v49, v44
	s_nop 7
	s_nop 0
	v_pk_add_f32 v[26:27], v[38:39], v[34:35]
	v_pk_add_f32 v[32:33], v[36:37], v[32:33]
	;; [unrolled: 1-line block ×4, first 2 shown]
	ds_write2_b32 v30, v24, v26 offset1:1
	ds_write2_b32 v30, v25, v27 offset0:2 offset1:3
	ds_write_b32 v30, v12 offset:16
	v_mov_b32_e32 v24, s23
	v_addc_co_u32_e32 v17, vcc, v17, v24, vcc
	v_mov_b32_e32 v24, s25
	v_add_co_u32_e32 v18, vcc, s24, v18
	v_addc_co_u32_e32 v19, vcc, v19, v24, vcc
	v_mov_b32_e32 v24, s15
	v_add_co_u32_e32 v20, vcc, s14, v20
	;; [unrolled: 3-line block ×3, first 2 shown]
	v_addc_co_u32_e32 v23, vcc, v23, v24, vcc
	v_pk_mov_b32 v[32:33], s[28:29], s[28:29] op_sel:[0,1]
	v_cmp_ge_i64_e32 vcc, s[18:19], v[32:33]
	s_cbranch_vccnz .LBB51_28
.LBB51_6:                               ; =>This Inner Loop Header: Depth=1
	s_and_b64 vcc, exec, s[12:13]
	s_cbranch_vccz .LBB51_18
; %bb.7:                                ;   in Loop: Header=BB51_6 Depth=1
	v_mov_b32_e32 v24, 0
	v_mov_b32_e32 v25, 0
	s_and_saveexec_b64 s[26:27], s[2:3]
	s_cbranch_execz .LBB51_11
; %bb.8:                                ;   in Loop: Header=BB51_6 Depth=1
	v_mov_b32_e32 v25, s19
	v_add_co_u32_e32 v24, vcc, s18, v28
	v_addc_co_u32_e32 v25, vcc, 0, v25, vcc
	v_cmp_gt_i64_e32 vcc, s[28:29], v[24:25]
	v_mov_b32_e32 v25, 0
	v_mov_b32_e32 v24, 0
	s_and_saveexec_b64 s[40:41], vcc
	s_cbranch_execz .LBB51_10
; %bb.9:                                ;   in Loop: Header=BB51_6 Depth=1
	global_load_dwordx2 v[24:25], v[18:19], off
.LBB51_10:                              ;   in Loop: Header=BB51_6 Depth=1
	s_or_b64 exec, exec, s[40:41]
.LBB51_11:                              ;   in Loop: Header=BB51_6 Depth=1
	s_or_b64 exec, exec, s[26:27]
	s_waitcnt vmcnt(0)
	ds_bpermute_b32 v24, v31, v24
	ds_bpermute_b32 v25, v31, v25
.LBB51_12:                              ;   in Loop: Header=BB51_6 Depth=1
	s_and_b64 vcc, exec, s[20:21]
	s_cbranch_vccz .LBB51_24
.LBB51_13:                              ;   in Loop: Header=BB51_6 Depth=1
	v_mov_b32_e32 v27, 0
	v_mov_b32_e32 v26, 0
	s_and_saveexec_b64 s[26:27], s[8:9]
	s_cbranch_execz .LBB51_17
; %bb.14:                               ;   in Loop: Header=BB51_6 Depth=1
	v_mov_b32_e32 v27, s19
	v_add_co_u32_e32 v26, vcc, s18, v14
	v_addc_co_u32_e32 v27, vcc, 0, v27, vcc
	v_cmp_gt_i64_e32 vcc, s[28:29], v[26:27]
	v_mov_b32_e32 v27, 0
	v_mov_b32_e32 v26, 0
	s_and_saveexec_b64 s[40:41], vcc
	s_cbranch_execz .LBB51_16
; %bb.15:                               ;   in Loop: Header=BB51_6 Depth=1
	global_load_dwordx2 v[26:27], v[22:23], off
.LBB51_16:                              ;   in Loop: Header=BB51_6 Depth=1
	s_or_b64 exec, exec, s[40:41]
.LBB51_17:                              ;   in Loop: Header=BB51_6 Depth=1
	s_or_b64 exec, exec, s[26:27]
	s_cbranch_execnz .LBB51_5
	s_branch .LBB51_25
.LBB51_18:                              ;   in Loop: Header=BB51_6 Depth=1
                                        ; implicit-def: $vgpr25
	s_cbranch_execz .LBB51_12
; %bb.19:                               ;   in Loop: Header=BB51_6 Depth=1
	s_waitcnt lgkmcnt(0)
	v_mov_b32_e32 v25, 0
	v_mov_b32_e32 v24, 0
	s_and_saveexec_b64 s[26:27], s[4:5]
	s_cbranch_execz .LBB51_23
; %bb.20:                               ;   in Loop: Header=BB51_6 Depth=1
	v_mov_b32_e32 v25, s19
	v_add_co_u32_e32 v24, vcc, s18, v14
	v_addc_co_u32_e32 v25, vcc, 0, v25, vcc
	v_cmp_gt_i64_e32 vcc, s[28:29], v[24:25]
	v_mov_b32_e32 v25, 0
	v_mov_b32_e32 v24, 0
	s_and_saveexec_b64 s[40:41], vcc
	s_cbranch_execz .LBB51_22
; %bb.21:                               ;   in Loop: Header=BB51_6 Depth=1
	global_load_dwordx2 v[24:25], v[16:17], off
.LBB51_22:                              ;   in Loop: Header=BB51_6 Depth=1
	s_or_b64 exec, exec, s[40:41]
.LBB51_23:                              ;   in Loop: Header=BB51_6 Depth=1
	s_or_b64 exec, exec, s[26:27]
	s_and_b64 vcc, exec, s[20:21]
	s_cbranch_vccnz .LBB51_13
.LBB51_24:                              ;   in Loop: Header=BB51_6 Depth=1
                                        ; implicit-def: $vgpr27
.LBB51_25:                              ;   in Loop: Header=BB51_6 Depth=1
	s_waitcnt vmcnt(0)
	v_mov_b32_e32 v26, 0
	v_mov_b32_e32 v27, 0
	s_and_saveexec_b64 s[26:27], s[0:1]
	s_cbranch_execz .LBB51_4
; %bb.26:                               ;   in Loop: Header=BB51_6 Depth=1
	v_mov_b32_e32 v27, s19
	v_add_co_u32_e32 v26, vcc, s18, v28
	v_addc_co_u32_e32 v27, vcc, 0, v27, vcc
	v_cmp_gt_i64_e32 vcc, s[28:29], v[26:27]
	v_mov_b32_e32 v27, 0
	v_mov_b32_e32 v26, 0
	s_and_saveexec_b64 s[40:41], vcc
	s_cbranch_execz .LBB51_3
; %bb.27:                               ;   in Loop: Header=BB51_6 Depth=1
	global_load_dwordx2 v[26:27], v[20:21], off
	s_branch .LBB51_3
.LBB51_28:
	ds_read_b32 v18, v30
.LBB51_29:
	s_load_dwordx2 s[0:1], s[6:7], 0xa0
	s_load_dwordx8 s[12:19], s[6:7], 0x80
	s_waitcnt lgkmcnt(0)
	s_mul_i32 s1, s10, s1
	s_mul_hi_u32 s2, s10, s0
	s_mul_i32 s0, s10, s0
	s_add_i32 s1, s2, s1
	s_lshl_b64 s[0:1], s[0:1], 3
	s_add_u32 s2, s12, s0
	s_addc_u32 s3, s13, s1
	s_lshl_b64 s[0:1], s[14:15], 3
	s_add_u32 s2, s2, s0
	s_addc_u32 s3, s3, s1
	v_mul_lo_u32 v14, v7, s18
	v_mul_lo_u32 v16, v6, s19
	v_mad_u64_u32 v[6:7], s[0:1], v6, s18, 0
	v_add3_u32 v7, v7, v16, v14
	v_mul_lo_u32 v14, v5, s16
	v_mul_lo_u32 v16, v4, s17
	v_mad_u64_u32 v[4:5], s[0:1], v4, s16, 0
	v_lshlrev_b64 v[6:7], 3, v[6:7]
	v_add3_u32 v5, v5, v16, v14
	v_mov_b32_e32 v14, s3
	v_add_co_u32_e32 v6, vcc, s2, v6
	v_addc_co_u32_e32 v7, vcc, v14, v7, vcc
	v_lshlrev_b64 v[4:5], 3, v[4:5]
	v_add_co_u32_e32 v16, vcc, v6, v4
	v_lshl_or_b32 v6, v15, 4, v10
	v_addc_co_u32_e32 v17, vcc, v7, v5, vcc
	v_mbcnt_hi_u32_b32 v7, -1, v29
	v_and_b32_e32 v6, 63, v6
	v_and_or_b32 v6, v7, 64, v6
	v_lshlrev_b32_e32 v14, 2, v6
	v_mad_u64_u32 v[6:7], s[0:1], v10, s18, 0
	v_cmp_lt_u64_e32 vcc, v[10:11], v[8:9]
	v_mov_b32_e32 v8, v7
	v_mad_u64_u32 v[8:9], s[0:1], v10, s19, v[8:9]
	v_mov_b32_e32 v7, v8
	v_lshlrev_b64 v[8:9], 3, v[6:7]
	ds_bpermute_b32 v6, v14, v18
	ds_bpermute_b32 v7, v14, v26
	v_add_co_u32_e64 v10, s[0:1], v16, v8
	v_lshlrev_b32_e32 v4, 2, v28
	v_mov_b32_e32 v5, 0
	v_addc_co_u32_e64 v11, s[0:1], v17, v9, s[0:1]
	v_cmp_lt_u64_e64 s[0:1], v[4:5], v[2:3]
	s_and_b64 s[0:1], vcc, s[0:1]
	s_and_saveexec_b64 s[2:3], s[0:1]
	s_cbranch_execz .LBB51_31
; %bb.30:
	v_mad_u64_u32 v[8:9], s[0:1], v4, s16, 0
	v_mov_b32_e32 v16, v9
	v_mad_u64_u32 v[16:17], s[0:1], v4, s17, v[16:17]
	v_mov_b32_e32 v9, v16
	v_lshlrev_b64 v[8:9], 3, v[8:9]
	v_add_co_u32_e64 v8, s[0:1], v10, v8
	v_addc_co_u32_e64 v9, s[0:1], v11, v9, s[0:1]
	global_load_dwordx2 v[16:17], v[8:9], off
	s_waitcnt lgkmcnt(0)
	v_pk_mul_f32 v[18:19], s[30:31], v[6:7]
	v_mul_f32_e32 v7, s30, v7
	v_fmac_f32_e32 v7, s31, v6
	v_sub_f32_e32 v15, v18, v19
	s_waitcnt vmcnt(0)
	v_mul_f32_e32 v6, s35, v17
	v_mul_f32_e32 v17, s34, v17
	v_fma_f32 v6, s34, v16, -v6
	v_fmac_f32_e32 v17, s35, v16
	v_add_f32_e32 v6, v15, v6
	v_add_f32_e32 v7, v7, v17
	global_store_dwordx2 v[8:9], v[6:7], off
.LBB51_31:
	s_or_b64 exec, exec, s[2:3]
	s_waitcnt lgkmcnt(1)
	ds_bpermute_b32 v6, v14, v25
	s_waitcnt lgkmcnt(1)
	ds_bpermute_b32 v7, v14, v27
	v_or_b32_e32 v8, 1, v4
	v_mov_b32_e32 v9, v5
	v_cmp_lt_u64_e64 s[0:1], v[8:9], v[2:3]
	s_and_b64 s[0:1], vcc, s[0:1]
	s_and_saveexec_b64 s[2:3], s[0:1]
	s_cbranch_execz .LBB51_33
; %bb.32:
	v_mad_u64_u32 v[16:17], s[0:1], v8, s16, 0
	v_mov_b32_e32 v18, v17
	v_mad_u64_u32 v[8:9], s[0:1], v8, s17, v[18:19]
	v_mov_b32_e32 v17, v8
	v_lshlrev_b64 v[8:9], 3, v[16:17]
	v_add_co_u32_e64 v8, s[0:1], v10, v8
	v_addc_co_u32_e64 v9, s[0:1], v11, v9, s[0:1]
	global_load_dwordx2 v[16:17], v[8:9], off
	s_waitcnt lgkmcnt(1)
	v_mul_f32_e32 v15, s31, v6
	s_waitcnt lgkmcnt(0)
	v_pk_mul_f32 v[18:19], s[30:31], v[6:7]
	v_fmac_f32_e32 v15, s30, v7
	v_sub_f32_e32 v6, v18, v19
	s_waitcnt vmcnt(0)
	v_mul_f32_e32 v7, s35, v17
	v_mul_f32_e32 v17, s34, v17
	v_fma_f32 v7, s34, v16, -v7
	v_fmac_f32_e32 v17, s35, v16
	v_add_f32_e32 v6, v6, v7
	v_add_f32_e32 v7, v15, v17
	global_store_dwordx2 v[8:9], v[6:7], off
.LBB51_33:
	s_or_b64 exec, exec, s[2:3]
	s_waitcnt lgkmcnt(1)
	ds_bpermute_b32 v6, v14, v12
	s_waitcnt lgkmcnt(1)
	ds_bpermute_b32 v7, v14, v0
	v_or_b32_e32 v8, 2, v4
	v_mov_b32_e32 v9, v5
	v_cmp_lt_u64_e64 s[0:1], v[8:9], v[2:3]
	s_and_b64 s[0:1], vcc, s[0:1]
	s_and_saveexec_b64 s[2:3], s[0:1]
	s_cbranch_execz .LBB51_35
; %bb.34:
	v_mad_u64_u32 v[16:17], s[0:1], v8, s16, 0
	v_mov_b32_e32 v0, v17
	v_mad_u64_u32 v[8:9], s[0:1], v8, s17, v[0:1]
	v_mov_b32_e32 v17, v8
	v_lshlrev_b64 v[8:9], 3, v[16:17]
	v_add_co_u32_e64 v8, s[0:1], v10, v8
	v_addc_co_u32_e64 v9, s[0:1], v11, v9, s[0:1]
	global_load_dwordx2 v[16:17], v[8:9], off
	s_waitcnt lgkmcnt(1)
	v_mul_f32_e32 v0, s31, v6
	s_waitcnt lgkmcnt(0)
	v_pk_mul_f32 v[18:19], s[30:31], v[6:7]
	v_fmac_f32_e32 v0, s30, v7
	v_sub_f32_e32 v6, v18, v19
	s_waitcnt vmcnt(0)
	v_mul_f32_e32 v7, s35, v17
	v_mul_f32_e32 v12, s34, v17
	v_fma_f32 v7, s34, v16, -v7
	v_fmac_f32_e32 v12, s35, v16
	v_add_f32_e32 v6, v6, v7
	v_add_f32_e32 v7, v0, v12
	global_store_dwordx2 v[8:9], v[6:7], off
.LBB51_35:
	s_or_b64 exec, exec, s[2:3]
	ds_bpermute_b32 v0, v14, v13
	ds_bpermute_b32 v1, v14, v1
	v_or_b32_e32 v4, 3, v4
	v_cmp_lt_u64_e64 s[0:1], v[4:5], v[2:3]
	s_and_b64 s[0:1], vcc, s[0:1]
	s_and_b64 exec, exec, s[0:1]
	s_cbranch_execz .LBB51_37
; %bb.36:
	v_mad_u64_u32 v[2:3], s[0:1], v4, s16, 0
	s_waitcnt lgkmcnt(3)
	v_mov_b32_e32 v6, v3
	s_waitcnt lgkmcnt(2)
	v_mad_u64_u32 v[4:5], s[0:1], v4, s17, v[6:7]
	v_mov_b32_e32 v3, v4
	v_lshlrev_b64 v[2:3], 3, v[2:3]
	v_add_co_u32_e32 v2, vcc, v10, v2
	v_addc_co_u32_e32 v3, vcc, v11, v3, vcc
	global_load_dwordx2 v[4:5], v[2:3], off
	s_waitcnt lgkmcnt(0)
	v_pk_mul_f32 v[6:7], s[30:31], v[0:1]
	v_mov_b32_e32 v6, v1
	s_mov_b32 s0, s31
	v_mov_b32_e32 v8, v7
	v_pk_mul_f32 v[6:7], s[30:31], v[6:7] op_sel_hi:[1,0]
	v_pk_fma_f32 v[8:9], s[30:31], v[0:1], v[8:9] neg_lo:[0,0,1] neg_hi:[0,0,1]
	v_pk_fma_f32 v[0:1], s[0:1], v[0:1], v[6:7]
	s_mov_b32 s2, s35
	s_waitcnt vmcnt(0)
	v_pk_mul_f32 v[6:7], s[34:35], v[4:5]
	v_mov_b32_e32 v6, v5
	v_mov_b32_e32 v10, v7
	v_pk_mul_f32 v[6:7], s[34:35], v[6:7]
	v_pk_fma_f32 v[10:11], s[34:35], v[4:5], v[10:11] neg_lo:[0,0,1] neg_hi:[0,0,1]
	v_pk_fma_f32 v[4:5], s[2:3], v[4:5], v[6:7]
	v_pk_add_f32 v[6:7], v[8:9], v[10:11]
	v_pk_add_f32 v[0:1], v[0:1], v[4:5]
	v_mov_b32_e32 v7, v0
	global_store_dwordx2 v[2:3], v[6:7], off
.LBB51_37:
	s_endpgm
	.section	.rodata,"a",@progbits
	.p2align	6, 0x0
	.amdhsa_kernel _ZN9rocsolver6v33100L16mfma_gemm_kernelI19rocblas_complex_numIfElS3_PKPS3_S6_S4_EEv18rocblas_operation_S7_T0_S8_S8_T1_T2_lS8_S8_lT3_lS8_S8_lS9_T4_lS8_S8_l
		.amdhsa_group_segment_fixed_size 20480
		.amdhsa_private_segment_fixed_size 0
		.amdhsa_kernarg_size 424
		.amdhsa_user_sgpr_count 8
		.amdhsa_user_sgpr_private_segment_buffer 1
		.amdhsa_user_sgpr_dispatch_ptr 1
		.amdhsa_user_sgpr_queue_ptr 0
		.amdhsa_user_sgpr_kernarg_segment_ptr 1
		.amdhsa_user_sgpr_dispatch_id 0
		.amdhsa_user_sgpr_flat_scratch_init 0
		.amdhsa_user_sgpr_kernarg_preload_length 0
		.amdhsa_user_sgpr_kernarg_preload_offset 0
		.amdhsa_user_sgpr_private_segment_size 0
		.amdhsa_uses_dynamic_stack 0
		.amdhsa_system_sgpr_private_segment_wavefront_offset 0
		.amdhsa_system_sgpr_workgroup_id_x 1
		.amdhsa_system_sgpr_workgroup_id_y 1
		.amdhsa_system_sgpr_workgroup_id_z 1
		.amdhsa_system_sgpr_workgroup_info 0
		.amdhsa_system_vgpr_workitem_id 2
		.amdhsa_next_free_vgpr 51
		.amdhsa_next_free_sgpr 46
		.amdhsa_accum_offset 52
		.amdhsa_reserve_vcc 1
		.amdhsa_reserve_flat_scratch 0
		.amdhsa_float_round_mode_32 0
		.amdhsa_float_round_mode_16_64 0
		.amdhsa_float_denorm_mode_32 3
		.amdhsa_float_denorm_mode_16_64 3
		.amdhsa_dx10_clamp 1
		.amdhsa_ieee_mode 1
		.amdhsa_fp16_overflow 0
		.amdhsa_tg_split 0
		.amdhsa_exception_fp_ieee_invalid_op 0
		.amdhsa_exception_fp_denorm_src 0
		.amdhsa_exception_fp_ieee_div_zero 0
		.amdhsa_exception_fp_ieee_overflow 0
		.amdhsa_exception_fp_ieee_underflow 0
		.amdhsa_exception_fp_ieee_inexact 0
		.amdhsa_exception_int_div_zero 0
	.end_amdhsa_kernel
	.section	.text._ZN9rocsolver6v33100L16mfma_gemm_kernelI19rocblas_complex_numIfElS3_PKPS3_S6_S4_EEv18rocblas_operation_S7_T0_S8_S8_T1_T2_lS8_S8_lT3_lS8_S8_lS9_T4_lS8_S8_l,"axG",@progbits,_ZN9rocsolver6v33100L16mfma_gemm_kernelI19rocblas_complex_numIfElS3_PKPS3_S6_S4_EEv18rocblas_operation_S7_T0_S8_S8_T1_T2_lS8_S8_lT3_lS8_S8_lS9_T4_lS8_S8_l,comdat
.Lfunc_end51:
	.size	_ZN9rocsolver6v33100L16mfma_gemm_kernelI19rocblas_complex_numIfElS3_PKPS3_S6_S4_EEv18rocblas_operation_S7_T0_S8_S8_T1_T2_lS8_S8_lT3_lS8_S8_lS9_T4_lS8_S8_l, .Lfunc_end51-_ZN9rocsolver6v33100L16mfma_gemm_kernelI19rocblas_complex_numIfElS3_PKPS3_S6_S4_EEv18rocblas_operation_S7_T0_S8_S8_T1_T2_lS8_S8_lT3_lS8_S8_lS9_T4_lS8_S8_l
                                        ; -- End function
	.section	.AMDGPU.csdata,"",@progbits
; Kernel info:
; codeLenInByte = 2680
; NumSgprs: 50
; NumVgprs: 51
; NumAgprs: 0
; TotalNumVgprs: 51
; ScratchSize: 0
; MemoryBound: 0
; FloatMode: 240
; IeeeMode: 1
; LDSByteSize: 20480 bytes/workgroup (compile time only)
; SGPRBlocks: 6
; VGPRBlocks: 6
; NumSGPRsForWavesPerEU: 50
; NumVGPRsForWavesPerEU: 51
; AccumOffset: 52
; Occupancy: 8
; WaveLimiterHint : 1
; COMPUTE_PGM_RSRC2:SCRATCH_EN: 0
; COMPUTE_PGM_RSRC2:USER_SGPR: 8
; COMPUTE_PGM_RSRC2:TRAP_HANDLER: 0
; COMPUTE_PGM_RSRC2:TGID_X_EN: 1
; COMPUTE_PGM_RSRC2:TGID_Y_EN: 1
; COMPUTE_PGM_RSRC2:TGID_Z_EN: 1
; COMPUTE_PGM_RSRC2:TIDIG_COMP_CNT: 2
; COMPUTE_PGM_RSRC3_GFX90A:ACCUM_OFFSET: 12
; COMPUTE_PGM_RSRC3_GFX90A:TG_SPLIT: 0
	.section	.text._ZN9rocsolver6v33100L11gemm_kernelI19rocblas_complex_numIfElPKS3_PKPS3_S8_S6_EEvT0_S9_S9_T1_bT2_lS9_S9_lbT3_lS9_S9_lSA_T4_lS9_S9_l,"axG",@progbits,_ZN9rocsolver6v33100L11gemm_kernelI19rocblas_complex_numIfElPKS3_PKPS3_S8_S6_EEvT0_S9_S9_T1_bT2_lS9_S9_lbT3_lS9_S9_lSA_T4_lS9_S9_l,comdat
	.globl	_ZN9rocsolver6v33100L11gemm_kernelI19rocblas_complex_numIfElPKS3_PKPS3_S8_S6_EEvT0_S9_S9_T1_bT2_lS9_S9_lbT3_lS9_S9_lSA_T4_lS9_S9_l ; -- Begin function _ZN9rocsolver6v33100L11gemm_kernelI19rocblas_complex_numIfElPKS3_PKPS3_S8_S6_EEvT0_S9_S9_T1_bT2_lS9_S9_lbT3_lS9_S9_lSA_T4_lS9_S9_l
	.p2align	8
	.type	_ZN9rocsolver6v33100L11gemm_kernelI19rocblas_complex_numIfElPKS3_PKPS3_S8_S6_EEvT0_S9_S9_T1_bT2_lS9_S9_lbT3_lS9_S9_lSA_T4_lS9_S9_l,@function
_ZN9rocsolver6v33100L11gemm_kernelI19rocblas_complex_numIfElPKS3_PKPS3_S8_S6_EEvT0_S9_S9_T1_bT2_lS9_S9_lbT3_lS9_S9_lSA_T4_lS9_S9_l: ; @_ZN9rocsolver6v33100L11gemm_kernelI19rocblas_complex_numIfElPKS3_PKPS3_S8_S6_EEvT0_S9_S9_T1_bT2_lS9_S9_lbT3_lS9_S9_lSA_T4_lS9_S9_l
; %bb.0:
	s_load_dword s0, s[4:5], 0xbc
	s_load_dwordx8 s[16:23], s[4:5], 0x0
	v_and_b32_e32 v4, 0x3ff, v0
	v_mov_b32_e32 v5, 0
	v_mov_b32_e32 v1, s6
	s_waitcnt lgkmcnt(0)
	s_lshr_b32 s2, s0, 16
	s_and_b32 s0, s0, 0xffff
	v_mad_u64_u32 v[2:3], s[0:1], s0, v1, v[4:5]
	v_bfe_u32 v4, v0, 10, 10
	v_mov_b32_e32 v0, s7
	v_mad_u64_u32 v[0:1], s[0:1], s2, v0, v[4:5]
	v_cmp_gt_i64_e32 vcc, s[16:17], v[2:3]
	v_cmp_gt_i64_e64 s[0:1], s[18:19], v[0:1]
	s_mov_b32 s9, 0
	s_and_b64 s[0:1], vcc, s[0:1]
	s_and_saveexec_b64 s[2:3], s[0:1]
	s_cbranch_execz .LBB52_9
; %bb.1:
	s_load_dwordx8 s[12:19], s[4:5], 0x80
	s_load_dwordx4 s[0:3], s[4:5], 0xa0
	s_load_dwordx2 s[10:11], s[22:23], 0x0
	v_mov_b32_e32 v4, 0
	s_waitcnt lgkmcnt(0)
	s_load_dwordx2 s[6:7], s[12:13], 0x0
	v_cmp_lt_i64_e64 s[12:13], s[20:21], 1
	s_and_b64 vcc, exec, s[12:13]
	s_cbranch_vccnz .LBB52_8
; %bb.2:
	s_load_dwordx8 s[36:43], s[4:5], 0x28
	s_load_dword s33, s[4:5], 0x20
	s_load_dword s34, s[4:5], 0x50
	s_load_dwordx8 s[24:31], s[4:5], 0x58
	s_lshl_b64 s[4:5], s[8:9], 3
	s_waitcnt lgkmcnt(0)
	s_add_u32 s12, s36, s4
	s_addc_u32 s13, s37, s5
	s_load_dwordx2 s[22:23], s[12:13], 0x0
	s_add_u32 s4, s24, s4
	s_addc_u32 s5, s25, s5
	s_bitcmp1_b32 s33, 0
	s_load_dwordx2 s[24:25], s[4:5], 0x0
	s_cselect_b64 s[4:5], -1, 0
	s_xor_b64 s[4:5], s[4:5], -1
	s_bitcmp1_b32 s34, 0
	v_mad_u64_u32 v[4:5], s[34:35], s40, v2, 0
	s_cselect_b64 s[12:13], -1, 0
	v_mul_lo_u32 v6, s41, v2
	v_mul_lo_u32 v7, s40, v3
	s_lshl_b64 s[34:35], s[38:39], 3
	v_add3_u32 v5, v5, v7, v6
	s_waitcnt lgkmcnt(0)
	s_add_u32 s9, s22, s34
	v_lshlrev_b64 v[4:5], 3, v[4:5]
	s_addc_u32 s22, s23, s35
	v_mov_b32_e32 v6, s22
	v_add_co_u32_e32 v4, vcc, s9, v4
	v_addc_co_u32_e32 v5, vcc, v6, v5, vcc
	v_add_co_u32_e32 v6, vcc, 4, v4
	v_addc_co_u32_e32 v7, vcc, 0, v5, vcc
	s_lshl_b64 s[22:23], s[42:43], 3
	v_mul_lo_u32 v8, s31, v0
	v_mul_lo_u32 v9, s30, v1
	v_mad_u64_u32 v[4:5], s[30:31], s30, v0, 0
	s_lshl_b64 s[26:27], s[26:27], 3
	v_add3_u32 v5, v5, v9, v8
	s_add_u32 s9, s24, s26
	v_lshlrev_b64 v[4:5], 3, v[4:5]
	s_addc_u32 s24, s25, s27
	v_mov_b32_e32 v8, s24
	v_add_co_u32_e32 v4, vcc, s9, v4
	v_addc_co_u32_e32 v5, vcc, v8, v5, vcc
	v_add_co_u32_e32 v8, vcc, 4, v4
	s_lshl_b64 s[24:25], s[28:29], 3
	v_addc_co_u32_e32 v9, vcc, 0, v5, vcc
	v_mov_b32_e32 v5, 0
	v_mov_b32_e32 v12, s23
	;; [unrolled: 1-line block ×4, first 2 shown]
	s_branch .LBB52_4
.LBB52_3:                               ;   in Loop: Header=BB52_4 Depth=1
	global_load_dwordx2 v[14:15], v[8:9], off offset:-4
	v_add_co_u32_e32 v6, vcc, s22, v6
	s_add_u32 s20, s20, -1
	v_addc_co_u32_e32 v7, vcc, v7, v12, vcc
	s_addc_u32 s21, s21, -1
	v_add_co_u32_e32 v8, vcc, s24, v8
	s_cmp_eq_u64 s[20:21], 0
	v_addc_co_u32_e32 v9, vcc, v9, v13, vcc
	s_waitcnt vmcnt(0)
	v_cndmask_b32_e64 v15, v15, -v15, s[12:13]
	v_mul_f32_e32 v16, v14, v11
	v_mul_f32_e32 v11, v15, v11
	v_fmac_f32_e32 v16, v15, v10
	v_fma_f32 v10, v14, v10, -v11
	v_add_f32_e32 v5, v5, v16
	v_add_f32_e32 v4, v4, v10
	s_cbranch_scc1 .LBB52_8
.LBB52_4:                               ; =>This Inner Loop Header: Depth=1
	s_and_b64 vcc, exec, s[4:5]
	s_cbranch_vccz .LBB52_6
; %bb.5:                                ;   in Loop: Header=BB52_4 Depth=1
	global_load_dwordx2 v[10:11], v[6:7], off offset:-4
	s_cbranch_execnz .LBB52_3
	s_branch .LBB52_7
.LBB52_6:                               ;   in Loop: Header=BB52_4 Depth=1
                                        ; implicit-def: $vgpr11
.LBB52_7:                               ;   in Loop: Header=BB52_4 Depth=1
	global_load_dwordx2 v[10:11], v[6:7], off offset:-4
	s_waitcnt vmcnt(0)
	v_xor_b32_e32 v11, 0x80000000, v11
	s_branch .LBB52_3
.LBB52_8:
	s_mul_i32 s3, s8, s3
	s_mul_hi_u32 s4, s8, s2
	s_add_i32 s3, s4, s3
	s_mul_i32 s2, s8, s2
	s_lshl_b64 s[2:3], s[2:3], 3
	s_add_u32 s4, s14, s2
	s_addc_u32 s5, s15, s3
	s_lshl_b64 s[2:3], s[16:17], 3
	s_add_u32 s4, s4, s2
	s_addc_u32 s5, s5, s3
	v_mul_lo_u32 v6, v3, s18
	v_mul_lo_u32 v7, v2, s19
	v_mad_u64_u32 v[2:3], s[2:3], v2, s18, 0
	v_add3_u32 v3, v3, v7, v6
	v_mul_lo_u32 v6, v1, s0
	v_mul_lo_u32 v7, v0, s1
	v_mad_u64_u32 v[0:1], s[0:1], v0, s0, 0
	v_lshlrev_b64 v[2:3], 3, v[2:3]
	v_add3_u32 v1, v1, v7, v6
	v_mov_b32_e32 v6, s5
	v_add_co_u32_e32 v2, vcc, s4, v2
	v_addc_co_u32_e32 v3, vcc, v6, v3, vcc
	v_lshlrev_b64 v[0:1], 3, v[0:1]
	v_add_co_u32_e32 v0, vcc, v2, v0
	v_addc_co_u32_e32 v1, vcc, v3, v1, vcc
	global_load_dwordx2 v[2:3], v[0:1], off
	v_mul_f32_e32 v6, s11, v5
	v_mul_f32_e32 v5, s10, v5
	v_fma_f32 v6, s10, v4, -v6
	v_fmac_f32_e32 v5, s11, v4
	s_waitcnt vmcnt(0) lgkmcnt(0)
	v_mul_f32_e32 v4, s7, v3
	v_mul_f32_e32 v3, s6, v3
	v_fma_f32 v4, s6, v2, -v4
	v_fmac_f32_e32 v3, s7, v2
	v_add_f32_e32 v2, v6, v4
	v_add_f32_e32 v3, v5, v3
	global_store_dwordx2 v[0:1], v[2:3], off
.LBB52_9:
	s_endpgm
	.section	.rodata,"a",@progbits
	.p2align	6, 0x0
	.amdhsa_kernel _ZN9rocsolver6v33100L11gemm_kernelI19rocblas_complex_numIfElPKS3_PKPS3_S8_S6_EEvT0_S9_S9_T1_bT2_lS9_S9_lbT3_lS9_S9_lSA_T4_lS9_S9_l
		.amdhsa_group_segment_fixed_size 0
		.amdhsa_private_segment_fixed_size 0
		.amdhsa_kernarg_size 432
		.amdhsa_user_sgpr_count 6
		.amdhsa_user_sgpr_private_segment_buffer 1
		.amdhsa_user_sgpr_dispatch_ptr 0
		.amdhsa_user_sgpr_queue_ptr 0
		.amdhsa_user_sgpr_kernarg_segment_ptr 1
		.amdhsa_user_sgpr_dispatch_id 0
		.amdhsa_user_sgpr_flat_scratch_init 0
		.amdhsa_user_sgpr_kernarg_preload_length 0
		.amdhsa_user_sgpr_kernarg_preload_offset 0
		.amdhsa_user_sgpr_private_segment_size 0
		.amdhsa_uses_dynamic_stack 0
		.amdhsa_system_sgpr_private_segment_wavefront_offset 0
		.amdhsa_system_sgpr_workgroup_id_x 1
		.amdhsa_system_sgpr_workgroup_id_y 1
		.amdhsa_system_sgpr_workgroup_id_z 1
		.amdhsa_system_sgpr_workgroup_info 0
		.amdhsa_system_vgpr_workitem_id 1
		.amdhsa_next_free_vgpr 17
		.amdhsa_next_free_sgpr 44
		.amdhsa_accum_offset 20
		.amdhsa_reserve_vcc 1
		.amdhsa_reserve_flat_scratch 0
		.amdhsa_float_round_mode_32 0
		.amdhsa_float_round_mode_16_64 0
		.amdhsa_float_denorm_mode_32 3
		.amdhsa_float_denorm_mode_16_64 3
		.amdhsa_dx10_clamp 1
		.amdhsa_ieee_mode 1
		.amdhsa_fp16_overflow 0
		.amdhsa_tg_split 0
		.amdhsa_exception_fp_ieee_invalid_op 0
		.amdhsa_exception_fp_denorm_src 0
		.amdhsa_exception_fp_ieee_div_zero 0
		.amdhsa_exception_fp_ieee_overflow 0
		.amdhsa_exception_fp_ieee_underflow 0
		.amdhsa_exception_fp_ieee_inexact 0
		.amdhsa_exception_int_div_zero 0
	.end_amdhsa_kernel
	.section	.text._ZN9rocsolver6v33100L11gemm_kernelI19rocblas_complex_numIfElPKS3_PKPS3_S8_S6_EEvT0_S9_S9_T1_bT2_lS9_S9_lbT3_lS9_S9_lSA_T4_lS9_S9_l,"axG",@progbits,_ZN9rocsolver6v33100L11gemm_kernelI19rocblas_complex_numIfElPKS3_PKPS3_S8_S6_EEvT0_S9_S9_T1_bT2_lS9_S9_lbT3_lS9_S9_lSA_T4_lS9_S9_l,comdat
.Lfunc_end52:
	.size	_ZN9rocsolver6v33100L11gemm_kernelI19rocblas_complex_numIfElPKS3_PKPS3_S8_S6_EEvT0_S9_S9_T1_bT2_lS9_S9_lbT3_lS9_S9_lSA_T4_lS9_S9_l, .Lfunc_end52-_ZN9rocsolver6v33100L11gemm_kernelI19rocblas_complex_numIfElPKS3_PKPS3_S8_S6_EEvT0_S9_S9_T1_bT2_lS9_S9_lbT3_lS9_S9_lSA_T4_lS9_S9_l
                                        ; -- End function
	.section	.AMDGPU.csdata,"",@progbits
; Kernel info:
; codeLenInByte = 768
; NumSgprs: 48
; NumVgprs: 17
; NumAgprs: 0
; TotalNumVgprs: 17
; ScratchSize: 0
; MemoryBound: 0
; FloatMode: 240
; IeeeMode: 1
; LDSByteSize: 0 bytes/workgroup (compile time only)
; SGPRBlocks: 5
; VGPRBlocks: 2
; NumSGPRsForWavesPerEU: 48
; NumVGPRsForWavesPerEU: 17
; AccumOffset: 20
; Occupancy: 8
; WaveLimiterHint : 0
; COMPUTE_PGM_RSRC2:SCRATCH_EN: 0
; COMPUTE_PGM_RSRC2:USER_SGPR: 6
; COMPUTE_PGM_RSRC2:TRAP_HANDLER: 0
; COMPUTE_PGM_RSRC2:TGID_X_EN: 1
; COMPUTE_PGM_RSRC2:TGID_Y_EN: 1
; COMPUTE_PGM_RSRC2:TGID_Z_EN: 1
; COMPUTE_PGM_RSRC2:TIDIG_COMP_CNT: 1
; COMPUTE_PGM_RSRC3_GFX90A:ACCUM_OFFSET: 4
; COMPUTE_PGM_RSRC3_GFX90A:TG_SPLIT: 0
	.section	.text._ZN9rocsolver6v33100L11gemm_kernelI19rocblas_complex_numIfElS3_PKPS3_S6_S4_EEvT0_S7_S7_T1_bT2_lS7_S7_lbT3_lS7_S7_lS8_T4_lS7_S7_l,"axG",@progbits,_ZN9rocsolver6v33100L11gemm_kernelI19rocblas_complex_numIfElS3_PKPS3_S6_S4_EEvT0_S7_S7_T1_bT2_lS7_S7_lbT3_lS7_S7_lS8_T4_lS7_S7_l,comdat
	.globl	_ZN9rocsolver6v33100L11gemm_kernelI19rocblas_complex_numIfElS3_PKPS3_S6_S4_EEvT0_S7_S7_T1_bT2_lS7_S7_lbT3_lS7_S7_lS8_T4_lS7_S7_l ; -- Begin function _ZN9rocsolver6v33100L11gemm_kernelI19rocblas_complex_numIfElS3_PKPS3_S6_S4_EEvT0_S7_S7_T1_bT2_lS7_S7_lbT3_lS7_S7_lS8_T4_lS7_S7_l
	.p2align	8
	.type	_ZN9rocsolver6v33100L11gemm_kernelI19rocblas_complex_numIfElS3_PKPS3_S6_S4_EEvT0_S7_S7_T1_bT2_lS7_S7_lbT3_lS7_S7_lS8_T4_lS7_S7_l,@function
_ZN9rocsolver6v33100L11gemm_kernelI19rocblas_complex_numIfElS3_PKPS3_S6_S4_EEvT0_S7_S7_T1_bT2_lS7_S7_lbT3_lS7_S7_lS8_T4_lS7_S7_l: ; @_ZN9rocsolver6v33100L11gemm_kernelI19rocblas_complex_numIfElS3_PKPS3_S6_S4_EEvT0_S7_S7_T1_bT2_lS7_S7_lbT3_lS7_S7_lS8_T4_lS7_S7_l
; %bb.0:
	s_load_dword s10, s[4:5], 0xbc
	s_load_dwordx4 s[0:3], s[4:5], 0x0
	v_and_b32_e32 v4, 0x3ff, v0
	v_mov_b32_e32 v5, 0
	v_mov_b32_e32 v1, s6
	s_waitcnt lgkmcnt(0)
	s_lshr_b32 s12, s10, 16
	s_and_b32 s10, s10, 0xffff
	v_mad_u64_u32 v[2:3], s[10:11], s10, v1, v[4:5]
	v_bfe_u32 v4, v0, 10, 10
	v_mov_b32_e32 v0, s7
	v_mad_u64_u32 v[0:1], s[6:7], s12, v0, v[4:5]
	v_cmp_gt_i64_e32 vcc, s[0:1], v[2:3]
	v_cmp_gt_i64_e64 s[0:1], s[2:3], v[0:1]
	s_mov_b32 s9, 0
	s_and_b64 s[0:1], vcc, s[0:1]
	s_and_saveexec_b64 s[2:3], s[0:1]
	s_cbranch_execz .LBB53_9
; %bb.1:
	s_load_dwordx2 s[10:11], s[4:5], 0x10
	s_load_dwordx4 s[0:3], s[4:5], 0x18
	s_load_dwordx2 s[6:7], s[4:5], 0x80
	v_mov_b32_e32 v4, 0
	s_waitcnt lgkmcnt(0)
	v_cmp_lt_i64_e64 s[12:13], s[10:11], 1
	s_and_b64 vcc, exec, s[12:13]
	s_cbranch_vccnz .LBB53_8
; %bb.2:
	s_load_dwordx8 s[20:27], s[4:5], 0x28
	s_load_dword s30, s[4:5], 0x50
	s_load_dwordx8 s[12:19], s[4:5], 0x58
	s_lshl_b64 s[28:29], s[8:9], 3
	s_waitcnt lgkmcnt(0)
	s_add_u32 s20, s20, s28
	s_addc_u32 s21, s21, s29
	s_add_u32 s12, s12, s28
	s_addc_u32 s13, s13, s29
	s_load_dwordx2 s[20:21], s[20:21], 0x0
	s_bitcmp1_b32 s2, 0
	s_cselect_b64 s[2:3], -1, 0
	s_xor_b64 s[2:3], s[2:3], -1
	s_bitcmp1_b32 s30, 0
	s_load_dwordx2 s[28:29], s[12:13], 0x0
	s_cselect_b64 s[12:13], -1, 0
	v_mul_lo_u32 v6, s25, v2
	v_mul_lo_u32 v7, s24, v3
	v_mad_u64_u32 v[4:5], s[24:25], s24, v2, 0
	s_lshl_b64 s[22:23], s[22:23], 3
	v_add3_u32 v5, v5, v7, v6
	s_waitcnt lgkmcnt(0)
	s_add_u32 s9, s20, s22
	v_lshlrev_b64 v[4:5], 3, v[4:5]
	s_addc_u32 s20, s21, s23
	v_mov_b32_e32 v6, s20
	v_add_co_u32_e32 v4, vcc, s9, v4
	v_addc_co_u32_e32 v5, vcc, v6, v5, vcc
	v_add_co_u32_e32 v6, vcc, 4, v4
	v_addc_co_u32_e32 v7, vcc, 0, v5, vcc
	s_lshl_b64 s[20:21], s[26:27], 3
	v_mul_lo_u32 v8, s19, v0
	v_mul_lo_u32 v9, s18, v1
	v_mad_u64_u32 v[4:5], s[18:19], s18, v0, 0
	s_lshl_b64 s[14:15], s[14:15], 3
	v_add3_u32 v5, v5, v9, v8
	s_add_u32 s9, s28, s14
	v_lshlrev_b64 v[4:5], 3, v[4:5]
	s_addc_u32 s14, s29, s15
	v_mov_b32_e32 v8, s14
	v_add_co_u32_e32 v4, vcc, s9, v4
	v_addc_co_u32_e32 v5, vcc, v8, v5, vcc
	v_add_co_u32_e32 v8, vcc, 4, v4
	s_lshl_b64 s[14:15], s[16:17], 3
	v_addc_co_u32_e32 v9, vcc, 0, v5, vcc
	v_mov_b32_e32 v5, 0
	v_mov_b32_e32 v12, s21
	;; [unrolled: 1-line block ×4, first 2 shown]
	s_branch .LBB53_4
.LBB53_3:                               ;   in Loop: Header=BB53_4 Depth=1
	global_load_dwordx2 v[14:15], v[8:9], off offset:-4
	v_add_co_u32_e32 v6, vcc, s20, v6
	s_add_u32 s10, s10, -1
	v_addc_co_u32_e32 v7, vcc, v7, v12, vcc
	s_addc_u32 s11, s11, -1
	v_add_co_u32_e32 v8, vcc, s14, v8
	s_cmp_eq_u64 s[10:11], 0
	v_addc_co_u32_e32 v9, vcc, v9, v13, vcc
	s_waitcnt vmcnt(0)
	v_cndmask_b32_e64 v15, v15, -v15, s[12:13]
	v_mul_f32_e32 v16, v14, v11
	v_mul_f32_e32 v11, v15, v11
	v_fmac_f32_e32 v16, v15, v10
	v_fma_f32 v10, v14, v10, -v11
	v_add_f32_e32 v5, v5, v16
	v_add_f32_e32 v4, v4, v10
	s_cbranch_scc1 .LBB53_8
.LBB53_4:                               ; =>This Inner Loop Header: Depth=1
	s_and_b64 vcc, exec, s[2:3]
	s_cbranch_vccz .LBB53_6
; %bb.5:                                ;   in Loop: Header=BB53_4 Depth=1
	global_load_dwordx2 v[10:11], v[6:7], off offset:-4
	s_cbranch_execnz .LBB53_3
	s_branch .LBB53_7
.LBB53_6:                               ;   in Loop: Header=BB53_4 Depth=1
                                        ; implicit-def: $vgpr11
.LBB53_7:                               ;   in Loop: Header=BB53_4 Depth=1
	global_load_dwordx2 v[10:11], v[6:7], off offset:-4
	s_waitcnt vmcnt(0)
	v_xor_b32_e32 v11, 0x80000000, v11
	s_branch .LBB53_3
.LBB53_8:
	s_load_dwordx2 s[2:3], s[4:5], 0xa8
	s_load_dwordx8 s[12:19], s[4:5], 0x88
	s_waitcnt lgkmcnt(0)
	s_mul_i32 s3, s8, s3
	s_mul_hi_u32 s4, s8, s2
	s_mul_i32 s2, s8, s2
	s_add_i32 s3, s4, s3
	s_lshl_b64 s[2:3], s[2:3], 3
	s_add_u32 s4, s12, s2
	s_addc_u32 s5, s13, s3
	s_lshl_b64 s[2:3], s[14:15], 3
	s_add_u32 s4, s4, s2
	s_addc_u32 s5, s5, s3
	v_mul_lo_u32 v6, v3, s16
	v_mul_lo_u32 v7, v2, s17
	v_mad_u64_u32 v[2:3], s[2:3], v2, s16, 0
	v_add3_u32 v3, v3, v7, v6
	v_mul_lo_u32 v6, v1, s18
	v_mul_lo_u32 v7, v0, s19
	v_mad_u64_u32 v[0:1], s[2:3], v0, s18, 0
	v_lshlrev_b64 v[2:3], 3, v[2:3]
	v_add3_u32 v1, v1, v7, v6
	v_mov_b32_e32 v6, s5
	v_add_co_u32_e32 v2, vcc, s4, v2
	v_addc_co_u32_e32 v3, vcc, v6, v3, vcc
	v_lshlrev_b64 v[0:1], 3, v[0:1]
	v_add_co_u32_e32 v0, vcc, v2, v0
	v_addc_co_u32_e32 v1, vcc, v3, v1, vcc
	global_load_dwordx2 v[2:3], v[0:1], off
	v_mul_f32_e32 v6, s1, v5
	v_mul_f32_e32 v5, s0, v5
	v_fma_f32 v6, s0, v4, -v6
	v_fmac_f32_e32 v5, s1, v4
	s_waitcnt vmcnt(0)
	v_mul_f32_e32 v4, s7, v3
	v_mul_f32_e32 v3, s6, v3
	v_fma_f32 v4, s6, v2, -v4
	v_fmac_f32_e32 v3, s7, v2
	v_add_f32_e32 v2, v6, v4
	v_add_f32_e32 v3, v5, v3
	global_store_dwordx2 v[0:1], v[2:3], off
.LBB53_9:
	s_endpgm
	.section	.rodata,"a",@progbits
	.p2align	6, 0x0
	.amdhsa_kernel _ZN9rocsolver6v33100L11gemm_kernelI19rocblas_complex_numIfElS3_PKPS3_S6_S4_EEvT0_S7_S7_T1_bT2_lS7_S7_lbT3_lS7_S7_lS8_T4_lS7_S7_l
		.amdhsa_group_segment_fixed_size 0
		.amdhsa_private_segment_fixed_size 0
		.amdhsa_kernarg_size 432
		.amdhsa_user_sgpr_count 6
		.amdhsa_user_sgpr_private_segment_buffer 1
		.amdhsa_user_sgpr_dispatch_ptr 0
		.amdhsa_user_sgpr_queue_ptr 0
		.amdhsa_user_sgpr_kernarg_segment_ptr 1
		.amdhsa_user_sgpr_dispatch_id 0
		.amdhsa_user_sgpr_flat_scratch_init 0
		.amdhsa_user_sgpr_kernarg_preload_length 0
		.amdhsa_user_sgpr_kernarg_preload_offset 0
		.amdhsa_user_sgpr_private_segment_size 0
		.amdhsa_uses_dynamic_stack 0
		.amdhsa_system_sgpr_private_segment_wavefront_offset 0
		.amdhsa_system_sgpr_workgroup_id_x 1
		.amdhsa_system_sgpr_workgroup_id_y 1
		.amdhsa_system_sgpr_workgroup_id_z 1
		.amdhsa_system_sgpr_workgroup_info 0
		.amdhsa_system_vgpr_workitem_id 1
		.amdhsa_next_free_vgpr 17
		.amdhsa_next_free_sgpr 31
		.amdhsa_accum_offset 20
		.amdhsa_reserve_vcc 1
		.amdhsa_reserve_flat_scratch 0
		.amdhsa_float_round_mode_32 0
		.amdhsa_float_round_mode_16_64 0
		.amdhsa_float_denorm_mode_32 3
		.amdhsa_float_denorm_mode_16_64 3
		.amdhsa_dx10_clamp 1
		.amdhsa_ieee_mode 1
		.amdhsa_fp16_overflow 0
		.amdhsa_tg_split 0
		.amdhsa_exception_fp_ieee_invalid_op 0
		.amdhsa_exception_fp_denorm_src 0
		.amdhsa_exception_fp_ieee_div_zero 0
		.amdhsa_exception_fp_ieee_overflow 0
		.amdhsa_exception_fp_ieee_underflow 0
		.amdhsa_exception_fp_ieee_inexact 0
		.amdhsa_exception_int_div_zero 0
	.end_amdhsa_kernel
	.section	.text._ZN9rocsolver6v33100L11gemm_kernelI19rocblas_complex_numIfElS3_PKPS3_S6_S4_EEvT0_S7_S7_T1_bT2_lS7_S7_lbT3_lS7_S7_lS8_T4_lS7_S7_l,"axG",@progbits,_ZN9rocsolver6v33100L11gemm_kernelI19rocblas_complex_numIfElS3_PKPS3_S6_S4_EEvT0_S7_S7_T1_bT2_lS7_S7_lbT3_lS7_S7_lS8_T4_lS7_S7_l,comdat
.Lfunc_end53:
	.size	_ZN9rocsolver6v33100L11gemm_kernelI19rocblas_complex_numIfElS3_PKPS3_S6_S4_EEvT0_S7_S7_T1_bT2_lS7_S7_lbT3_lS7_S7_lS8_T4_lS7_S7_l, .Lfunc_end53-_ZN9rocsolver6v33100L11gemm_kernelI19rocblas_complex_numIfElS3_PKPS3_S6_S4_EEvT0_S7_S7_T1_bT2_lS7_S7_lbT3_lS7_S7_lS8_T4_lS7_S7_l
                                        ; -- End function
	.section	.AMDGPU.csdata,"",@progbits
; Kernel info:
; codeLenInByte = 772
; NumSgprs: 35
; NumVgprs: 17
; NumAgprs: 0
; TotalNumVgprs: 17
; ScratchSize: 0
; MemoryBound: 0
; FloatMode: 240
; IeeeMode: 1
; LDSByteSize: 0 bytes/workgroup (compile time only)
; SGPRBlocks: 4
; VGPRBlocks: 2
; NumSGPRsForWavesPerEU: 35
; NumVGPRsForWavesPerEU: 17
; AccumOffset: 20
; Occupancy: 8
; WaveLimiterHint : 1
; COMPUTE_PGM_RSRC2:SCRATCH_EN: 0
; COMPUTE_PGM_RSRC2:USER_SGPR: 6
; COMPUTE_PGM_RSRC2:TRAP_HANDLER: 0
; COMPUTE_PGM_RSRC2:TGID_X_EN: 1
; COMPUTE_PGM_RSRC2:TGID_Y_EN: 1
; COMPUTE_PGM_RSRC2:TGID_Z_EN: 1
; COMPUTE_PGM_RSRC2:TIDIG_COMP_CNT: 1
; COMPUTE_PGM_RSRC3_GFX90A:ACCUM_OFFSET: 4
; COMPUTE_PGM_RSRC3_GFX90A:TG_SPLIT: 0
	.section	.text._ZN9rocsolver6v33100L16mfma_gemm_kernelI19rocblas_complex_numIfElPKS3_PKPS3_S6_S6_EEv18rocblas_operation_S9_T0_SA_SA_T1_T2_lSA_SA_lT3_lSA_SA_lSB_T4_lSA_SA_l,"axG",@progbits,_ZN9rocsolver6v33100L16mfma_gemm_kernelI19rocblas_complex_numIfElPKS3_PKPS3_S6_S6_EEv18rocblas_operation_S9_T0_SA_SA_T1_T2_lSA_SA_lT3_lSA_SA_lSB_T4_lSA_SA_l,comdat
	.globl	_ZN9rocsolver6v33100L16mfma_gemm_kernelI19rocblas_complex_numIfElPKS3_PKPS3_S6_S6_EEv18rocblas_operation_S9_T0_SA_SA_T1_T2_lSA_SA_lT3_lSA_SA_lSB_T4_lSA_SA_l ; -- Begin function _ZN9rocsolver6v33100L16mfma_gemm_kernelI19rocblas_complex_numIfElPKS3_PKPS3_S6_S6_EEv18rocblas_operation_S9_T0_SA_SA_T1_T2_lSA_SA_lT3_lSA_SA_lSB_T4_lSA_SA_l
	.p2align	8
	.type	_ZN9rocsolver6v33100L16mfma_gemm_kernelI19rocblas_complex_numIfElPKS3_PKPS3_S6_S6_EEv18rocblas_operation_S9_T0_SA_SA_T1_T2_lSA_SA_lT3_lSA_SA_lSB_T4_lSA_SA_l,@function
_ZN9rocsolver6v33100L16mfma_gemm_kernelI19rocblas_complex_numIfElPKS3_PKPS3_S6_S6_EEv18rocblas_operation_S9_T0_SA_SA_T1_T2_lSA_SA_lT3_lSA_SA_lSB_T4_lSA_SA_l: ; @_ZN9rocsolver6v33100L16mfma_gemm_kernelI19rocblas_complex_numIfElPKS3_PKPS3_S6_S6_EEv18rocblas_operation_S9_T0_SA_SA_T1_T2_lSA_SA_lT3_lSA_SA_lSB_T4_lSA_SA_l
; %bb.0:
	s_load_dword s0, s[6:7], 0xb4
	s_load_dwordx16 s[36:51], s[6:7], 0x8
	v_and_b32_e32 v1, 0x3ff, v0
	v_lshrrev_b32_e32 v2, 6, v1
	v_mov_b32_e32 v3, 0
	s_waitcnt lgkmcnt(0)
	s_lshr_b32 s2, s0, 16
	s_bfe_u32 s0, s0, 0xa0006
	v_mov_b32_e32 v4, s8
	v_bfe_u32 v8, v0, 10, 10
	v_mov_b32_e32 v9, v3
	v_mad_u64_u32 v[16:17], s[0:1], s0, v4, v[2:3]
	v_mov_b32_e32 v2, s9
	v_mad_u64_u32 v[20:21], s[0:1], s2, v2, v[8:9]
	v_lshlrev_b64 v[4:5], 4, v[16:17]
	v_lshlrev_b64 v[6:7], 4, v[20:21]
	v_cmp_gt_i64_e32 vcc, s[36:37], v[4:5]
	v_cmp_gt_i64_e64 s[0:1], s[38:39], v[6:7]
	s_mov_b32 s11, 0
	s_and_b64 s[0:1], vcc, s[0:1]
	s_and_saveexec_b64 s[2:3], s[0:1]
	s_cbranch_execz .LBB54_37
; %bb.1:
	s_load_dwordx2 s[0:1], s[4:5], 0x4
	s_load_dwordx16 s[12:27], s[6:7], 0x50
	v_bfe_u32 v0, v0, 20, 10
	v_bfe_u32 v10, v1, 2, 4
	v_mov_b32_e32 v11, v3
	s_waitcnt lgkmcnt(0)
	s_lshr_b32 s0, s0, 16
	s_mul_i32 s0, s0, s1
	v_mul_u32_u24_e32 v2, s1, v8
	v_mul_lo_u32 v8, s0, v1
	v_add3_u32 v0, v8, v2, v0
	v_add_co_u32_e32 v8, vcc, 16, v4
	v_addc_co_u32_e32 v9, vcc, 0, v5, vcc
	s_and_b32 s0, s36, 15
	v_mul_lo_u32 v30, v0, 20
	v_mov_b32_e32 v0, s0
	v_cmp_lt_u64_e32 vcc, s[36:37], v[8:9]
	v_cndmask_b32_e32 v2, 16, v0, vcc
	v_add_co_u32_e32 v8, vcc, 16, v6
	s_load_dwordx2 s[30:31], s[42:43], 0x0
	s_load_dwordx2 s[28:29], s[22:23], 0x0
	v_addc_co_u32_e32 v9, vcc, 0, v7, vcc
	s_and_b32 s0, s38, 15
	v_mov_b32_e32 v0, s0
	v_cmp_lt_u64_e32 vcc, s[38:39], v[8:9]
	v_cndmask_b32_e32 v8, 16, v0, vcc
	v_mov_b32_e32 v9, v3
	v_cmp_lt_i64_e64 s[0:1], s[40:41], 1
	v_and_b32_e32 v15, 63, v1
	v_and_b32_e32 v28, 3, v1
	s_and_b64 vcc, exec, s[0:1]
	v_cmp_lt_u64_e64 s[0:1], v[10:11], v[8:9]
	v_mbcnt_lo_u32_b32 v29, -1, 0
	v_mov_b32_e32 v13, v3
	v_mov_b32_e32 v0, v3
	;; [unrolled: 1-line block ×8, first 2 shown]
	ds_write2_b32 v30, v3, v3 offset0:2 offset1:3
	ds_write2_b32 v30, v3, v3 offset1:1
	ds_write_b32 v30, v3 offset:16
	s_cbranch_vccnz .LBB54_29
; %bb.2:
	s_load_dwordx2 s[38:39], s[6:7], 0x0
	s_lshl_b64 s[2:3], s[10:11], 3
	s_add_u32 s2, s44, s2
	s_addc_u32 s3, s45, s3
	v_lshrrev_b32_e32 v14, 4, v15
	s_waitcnt lgkmcnt(0)
	s_cmpk_lg_i32 s38, 0x6f
	s_cselect_b64 s[22:23], -1, 0
	s_cmpk_lg_i32 s39, 0x6f
	s_cselect_b64 s[34:35], -1, 0
	s_cmpk_eq_i32 s39, 0x6f
	s_cselect_b32 s11, s18, s16
	s_cselect_b32 s33, s19, s17
	s_cmpk_eq_i32 s38, 0x6f
	s_cselect_b32 s44, s48, s50
	s_cselect_b32 s45, s49, s51
	v_mul_lo_u32 v18, s45, v16
	v_mul_lo_u32 v17, s44, v17
	v_mad_u64_u32 v[12:13], s[44:45], s44, v16, 0
	v_add3_u32 v13, v13, v17, v18
	v_mad_u64_u32 v[16:17], s[44:45], s50, v14, 0
	v_mov_b32_e32 v18, v17
	v_mad_u64_u32 v[18:19], s[44:45], s51, v14, v[18:19]
	v_mov_b32_e32 v17, v18
	v_lshlrev_b64 v[12:13], 7, v[12:13]
	v_lshlrev_b64 v[16:17], 3, v[16:17]
	v_and_b32_e32 v0, 15, v15
	v_add_co_u32_e32 v22, vcc, v12, v16
	s_load_dwordx2 s[42:43], s[2:3], 0x0
	v_addc_co_u32_e32 v23, vcc, v13, v17, vcc
	v_mad_u64_u32 v[16:17], s[44:45], s48, v0, 0
	v_mov_b32_e32 v18, v17
	s_cmpk_eq_i32 s38, 0x71
	v_mad_u64_u32 v[18:19], s[44:45], s49, v0, v[18:19]
	s_cselect_b64 s[36:37], -1, 0
	s_cmpk_eq_i32 s39, 0x71
	v_mov_b32_e32 v17, v18
	s_cselect_b64 s[38:39], -1, 0
	v_lshlrev_b64 v[16:17], 3, v[16:17]
	s_lshl_b64 s[44:45], s[46:47], 3
	v_add_co_u32_e32 v16, vcc, v22, v16
	s_waitcnt lgkmcnt(0)
	s_add_u32 s46, s42, s44
	v_addc_co_u32_e32 v17, vcc, v23, v17, vcc
	s_addc_u32 s47, s43, s45
	v_mov_b32_e32 v18, s47
	v_add_co_u32_e32 v16, vcc, s46, v16
	v_addc_co_u32_e32 v17, vcc, v18, v17, vcc
	v_mad_u64_u32 v[18:19], s[44:45], s50, v10, 0
	v_mov_b32_e32 v22, v19
	v_mad_u64_u32 v[22:23], s[44:45], s51, v10, v[22:23]
	v_mov_b32_e32 v19, v22
	v_lshlrev_b64 v[18:19], 3, v[18:19]
	v_add_co_u32_e32 v22, vcc, v12, v18
	v_addc_co_u32_e32 v23, vcc, v13, v19, vcc
	v_mad_u64_u32 v[12:13], s[44:45], s48, v28, 0
	v_mov_b32_e32 v18, v13
	v_mad_u64_u32 v[18:19], s[44:45], s49, v28, v[18:19]
	v_mov_b32_e32 v13, v18
	v_lshlrev_b64 v[12:13], 3, v[12:13]
	v_add_co_u32_e32 v12, vcc, v22, v12
	v_addc_co_u32_e32 v13, vcc, v23, v13, vcc
	v_mov_b32_e32 v19, s47
	v_add_co_u32_e32 v18, vcc, s46, v12
	v_addc_co_u32_e32 v19, vcc, v19, v13, vcc
	v_mul_lo_u32 v22, s33, v20
	v_mul_lo_u32 v21, s11, v21
	v_mad_u64_u32 v[12:13], s[46:47], s11, v20, 0
	v_add3_u32 v13, v13, v21, v22
	v_mad_u64_u32 v[20:21], s[46:47], s18, v10, 0
	v_mov_b32_e32 v22, v21
	v_mad_u64_u32 v[22:23], s[46:47], s19, v10, v[22:23]
	v_mov_b32_e32 v21, v22
	v_lshlrev_b64 v[12:13], 7, v[12:13]
	v_lshlrev_b64 v[20:21], 3, v[20:21]
	s_mul_i32 s11, s21, s10
	s_mul_hi_u32 s21, s20, s10
	v_add_co_u32_e32 v20, vcc, v12, v20
	s_add_i32 s21, s21, s11
	s_mul_i32 s20, s20, s10
	v_addc_co_u32_e32 v21, vcc, v13, v21, vcc
	s_lshl_b64 s[20:21], s[20:21], 3
	v_mov_b32_e32 v27, s21
	v_add_co_u32_e32 v24, vcc, s20, v20
	v_addc_co_u32_e32 v25, vcc, v21, v27, vcc
	v_mad_u64_u32 v[20:21], s[46:47], s16, v28, 0
	v_mov_b32_e32 v22, v21
	v_mad_u64_u32 v[22:23], s[46:47], s17, v28, v[22:23]
	v_mov_b32_e32 v21, v22
	s_lshl_b64 s[42:43], s[50:51], 5
	s_lshl_b64 s[44:45], s[48:49], 5
	v_lshlrev_b64 v[20:21], 3, v[20:21]
	s_lshl_b64 s[14:15], s[14:15], 3
	v_add_co_u32_e32 v20, vcc, v24, v20
	s_add_u32 s11, s12, s14
	v_addc_co_u32_e32 v21, vcc, v25, v21, vcc
	s_addc_u32 s21, s13, s15
	v_mov_b32_e32 v22, s21
	v_add_co_u32_e32 v20, vcc, s11, v20
	v_addc_co_u32_e32 v21, vcc, v22, v21, vcc
	v_mad_u64_u32 v[22:23], s[14:15], s18, v14, 0
	v_mov_b32_e32 v24, v23
	v_mad_u64_u32 v[24:25], s[14:15], s19, v14, v[24:25]
	v_mov_b32_e32 v23, v24
	v_lshlrev_b64 v[22:23], 3, v[22:23]
	v_add_co_u32_e32 v12, vcc, v12, v22
	v_addc_co_u32_e32 v13, vcc, v13, v23, vcc
	v_add_co_u32_e32 v24, vcc, s20, v12
	v_addc_co_u32_e32 v25, vcc, v13, v27, vcc
	v_mad_u64_u32 v[12:13], s[14:15], s16, v0, 0
	v_mov_b32_e32 v22, v13
	v_mad_u64_u32 v[22:23], s[14:15], s17, v0, v[22:23]
	v_mov_b32_e32 v13, v22
	v_mov_b32_e32 v1, 0
	v_lshlrev_b64 v[12:13], 3, v[12:13]
	v_lshl_or_b32 v26, v0, 2, v14
	v_cmp_lt_u64_e64 s[4:5], v[0:1], v[2:3]
	v_cmp_lt_u64_e64 s[8:9], v[0:1], v[8:9]
	v_add_co_u32_e32 v0, vcc, v24, v12
	v_addc_co_u32_e32 v12, vcc, v25, v13, vcc
	v_add_co_u32_e32 v22, vcc, s11, v0
	v_mbcnt_hi_u32_b32 v0, -1, v29
	v_mov_b32_e32 v13, s21
	v_and_or_b32 v0, v0, 64, v26
	v_cmp_lt_u64_e64 s[2:3], v[10:11], v[2:3]
	s_lshl_b64 s[12:13], s[16:17], 5
	v_addc_co_u32_e32 v23, vcc, v13, v12, vcc
	s_lshl_b64 s[14:15], s[18:19], 5
	s_mov_b64 s[16:17], 0
	v_lshlrev_b32_e32 v31, 2, v0
	v_mov_b32_e32 v12, v1
	v_mov_b32_e32 v0, v1
	;; [unrolled: 1-line block ×3, first 2 shown]
	s_branch .LBB54_6
.LBB54_3:                               ;   in Loop: Header=BB54_6 Depth=1
	s_or_b64 exec, exec, s[20:21]
.LBB54_4:                               ;   in Loop: Header=BB54_6 Depth=1
	s_or_b64 exec, exec, s[18:19]
	s_waitcnt vmcnt(0)
	ds_bpermute_b32 v26, v31, v26
	ds_bpermute_b32 v27, v31, v27
.LBB54_5:                               ;   in Loop: Header=BB54_6 Depth=1
	s_waitcnt vmcnt(0) lgkmcnt(0)
	v_cndmask_b32_e64 v50, v25, -v25, s[36:37]
	v_cndmask_b32_e64 v27, v27, -v27, s[38:39]
	v_mfma_f32_16x16x4f32 v[32:35], v24, v26, 0
	v_add_co_u32_e32 v16, vcc, s42, v16
	s_add_u32 s16, s16, 4
	s_addc_u32 s17, s17, 0
	v_mfma_f32_16x16x4f32 v[40:43], v50, v27, 0
	v_mfma_f32_16x16x4f32 v[36:39], v24, v27, 0
	ds_read2_b32 v[24:25], v30 offset1:1
	ds_read2_b32 v[44:45], v30 offset0:3 offset1:4
	ds_read2_b32 v[46:47], v30 offset0:2 offset1:3
	;; [unrolled: 1-line block ×3, first 2 shown]
	s_nop 5
	v_sub_f32_e32 v35, v35, v43
	v_sub_f32_e32 v34, v34, v42
	;; [unrolled: 1-line block ×4, first 2 shown]
	s_waitcnt lgkmcnt(1)
	v_mov_b32_e32 v25, v46
	v_pk_add_f32 v[24:25], v[24:25], v[32:33]
	v_pk_add_f32 v[12:13], v[12:13], v[34:35]
	v_mfma_f32_16x16x4f32 v[32:35], v50, v26, 0
	s_waitcnt lgkmcnt(0)
	v_mov_b32_e32 v49, v44
	s_nop 7
	s_nop 0
	v_pk_add_f32 v[26:27], v[38:39], v[34:35]
	v_pk_add_f32 v[32:33], v[36:37], v[32:33]
	;; [unrolled: 1-line block ×4, first 2 shown]
	ds_write2_b32 v30, v24, v26 offset1:1
	ds_write2_b32 v30, v25, v27 offset0:2 offset1:3
	ds_write_b32 v30, v12 offset:16
	v_mov_b32_e32 v24, s43
	v_addc_co_u32_e32 v17, vcc, v17, v24, vcc
	v_mov_b32_e32 v24, s45
	v_add_co_u32_e32 v18, vcc, s44, v18
	v_addc_co_u32_e32 v19, vcc, v19, v24, vcc
	v_mov_b32_e32 v24, s13
	v_add_co_u32_e32 v20, vcc, s12, v20
	;; [unrolled: 3-line block ×3, first 2 shown]
	v_addc_co_u32_e32 v23, vcc, v23, v24, vcc
	v_pk_mov_b32 v[32:33], s[40:41], s[40:41] op_sel:[0,1]
	v_cmp_ge_i64_e32 vcc, s[16:17], v[32:33]
	s_cbranch_vccnz .LBB54_28
.LBB54_6:                               ; =>This Inner Loop Header: Depth=1
	s_and_b64 vcc, exec, s[22:23]
	s_cbranch_vccz .LBB54_18
; %bb.7:                                ;   in Loop: Header=BB54_6 Depth=1
	v_mov_b32_e32 v24, 0
	v_mov_b32_e32 v25, 0
	s_and_saveexec_b64 s[18:19], s[2:3]
	s_cbranch_execz .LBB54_11
; %bb.8:                                ;   in Loop: Header=BB54_6 Depth=1
	v_mov_b32_e32 v25, s17
	v_add_co_u32_e32 v24, vcc, s16, v28
	v_addc_co_u32_e32 v25, vcc, 0, v25, vcc
	v_cmp_gt_i64_e32 vcc, s[40:41], v[24:25]
	v_mov_b32_e32 v25, 0
	v_mov_b32_e32 v24, 0
	s_and_saveexec_b64 s[20:21], vcc
	s_cbranch_execz .LBB54_10
; %bb.9:                                ;   in Loop: Header=BB54_6 Depth=1
	global_load_dwordx2 v[24:25], v[18:19], off
.LBB54_10:                              ;   in Loop: Header=BB54_6 Depth=1
	s_or_b64 exec, exec, s[20:21]
.LBB54_11:                              ;   in Loop: Header=BB54_6 Depth=1
	s_or_b64 exec, exec, s[18:19]
	s_waitcnt vmcnt(0)
	ds_bpermute_b32 v24, v31, v24
	ds_bpermute_b32 v25, v31, v25
.LBB54_12:                              ;   in Loop: Header=BB54_6 Depth=1
	s_and_b64 vcc, exec, s[34:35]
	s_cbranch_vccz .LBB54_24
.LBB54_13:                              ;   in Loop: Header=BB54_6 Depth=1
	v_mov_b32_e32 v27, 0
	v_mov_b32_e32 v26, 0
	s_and_saveexec_b64 s[18:19], s[8:9]
	s_cbranch_execz .LBB54_17
; %bb.14:                               ;   in Loop: Header=BB54_6 Depth=1
	v_mov_b32_e32 v27, s17
	v_add_co_u32_e32 v26, vcc, s16, v14
	v_addc_co_u32_e32 v27, vcc, 0, v27, vcc
	v_cmp_gt_i64_e32 vcc, s[40:41], v[26:27]
	v_mov_b32_e32 v27, 0
	v_mov_b32_e32 v26, 0
	s_and_saveexec_b64 s[20:21], vcc
	s_cbranch_execz .LBB54_16
; %bb.15:                               ;   in Loop: Header=BB54_6 Depth=1
	global_load_dwordx2 v[26:27], v[22:23], off
.LBB54_16:                              ;   in Loop: Header=BB54_6 Depth=1
	s_or_b64 exec, exec, s[20:21]
.LBB54_17:                              ;   in Loop: Header=BB54_6 Depth=1
	s_or_b64 exec, exec, s[18:19]
	s_cbranch_execnz .LBB54_5
	s_branch .LBB54_25
.LBB54_18:                              ;   in Loop: Header=BB54_6 Depth=1
                                        ; implicit-def: $vgpr25
	s_cbranch_execz .LBB54_12
; %bb.19:                               ;   in Loop: Header=BB54_6 Depth=1
	s_waitcnt lgkmcnt(0)
	v_mov_b32_e32 v25, 0
	v_mov_b32_e32 v24, 0
	s_and_saveexec_b64 s[18:19], s[4:5]
	s_cbranch_execz .LBB54_23
; %bb.20:                               ;   in Loop: Header=BB54_6 Depth=1
	v_mov_b32_e32 v25, s17
	v_add_co_u32_e32 v24, vcc, s16, v14
	v_addc_co_u32_e32 v25, vcc, 0, v25, vcc
	v_cmp_gt_i64_e32 vcc, s[40:41], v[24:25]
	v_mov_b32_e32 v25, 0
	v_mov_b32_e32 v24, 0
	s_and_saveexec_b64 s[20:21], vcc
	s_cbranch_execz .LBB54_22
; %bb.21:                               ;   in Loop: Header=BB54_6 Depth=1
	global_load_dwordx2 v[24:25], v[16:17], off
.LBB54_22:                              ;   in Loop: Header=BB54_6 Depth=1
	s_or_b64 exec, exec, s[20:21]
.LBB54_23:                              ;   in Loop: Header=BB54_6 Depth=1
	s_or_b64 exec, exec, s[18:19]
	s_and_b64 vcc, exec, s[34:35]
	s_cbranch_vccnz .LBB54_13
.LBB54_24:                              ;   in Loop: Header=BB54_6 Depth=1
                                        ; implicit-def: $vgpr27
.LBB54_25:                              ;   in Loop: Header=BB54_6 Depth=1
	s_waitcnt vmcnt(0)
	v_mov_b32_e32 v26, 0
	v_mov_b32_e32 v27, 0
	s_and_saveexec_b64 s[18:19], s[0:1]
	s_cbranch_execz .LBB54_4
; %bb.26:                               ;   in Loop: Header=BB54_6 Depth=1
	v_mov_b32_e32 v27, s17
	v_add_co_u32_e32 v26, vcc, s16, v28
	v_addc_co_u32_e32 v27, vcc, 0, v27, vcc
	v_cmp_gt_i64_e32 vcc, s[40:41], v[26:27]
	v_mov_b32_e32 v27, 0
	v_mov_b32_e32 v26, 0
	s_and_saveexec_b64 s[20:21], vcc
	s_cbranch_execz .LBB54_3
; %bb.27:                               ;   in Loop: Header=BB54_6 Depth=1
	global_load_dwordx2 v[26:27], v[20:21], off
	s_branch .LBB54_3
.LBB54_28:
	ds_read_b32 v18, v30
.LBB54_29:
	s_load_dwordx2 s[0:1], s[6:7], 0xa0
	s_load_dwordx4 s[12:15], s[6:7], 0x90
	s_waitcnt lgkmcnt(0)
	s_mul_i32 s1, s10, s1
	s_mul_hi_u32 s2, s10, s0
	s_mul_i32 s0, s10, s0
	s_add_i32 s1, s2, s1
	s_lshl_b64 s[0:1], s[0:1], 3
	s_add_u32 s2, s24, s0
	s_addc_u32 s3, s25, s1
	s_lshl_b64 s[0:1], s[26:27], 3
	s_add_u32 s2, s2, s0
	s_addc_u32 s3, s3, s1
	v_mul_lo_u32 v14, v7, s14
	v_mul_lo_u32 v16, v6, s15
	v_mad_u64_u32 v[6:7], s[0:1], v6, s14, 0
	v_add3_u32 v7, v7, v16, v14
	v_mul_lo_u32 v14, v5, s12
	v_mul_lo_u32 v16, v4, s13
	v_mad_u64_u32 v[4:5], s[0:1], v4, s12, 0
	v_lshlrev_b64 v[6:7], 3, v[6:7]
	v_add3_u32 v5, v5, v16, v14
	v_mov_b32_e32 v14, s3
	v_add_co_u32_e32 v6, vcc, s2, v6
	v_addc_co_u32_e32 v7, vcc, v14, v7, vcc
	v_lshlrev_b64 v[4:5], 3, v[4:5]
	v_add_co_u32_e32 v16, vcc, v6, v4
	v_lshl_or_b32 v6, v15, 4, v10
	v_addc_co_u32_e32 v17, vcc, v7, v5, vcc
	v_mbcnt_hi_u32_b32 v7, -1, v29
	v_and_b32_e32 v6, 63, v6
	v_and_or_b32 v6, v7, 64, v6
	v_lshlrev_b32_e32 v14, 2, v6
	v_mad_u64_u32 v[6:7], s[0:1], v10, s14, 0
	v_cmp_lt_u64_e32 vcc, v[10:11], v[8:9]
	v_mov_b32_e32 v8, v7
	v_mad_u64_u32 v[8:9], s[0:1], v10, s15, v[8:9]
	v_mov_b32_e32 v7, v8
	v_lshlrev_b64 v[8:9], 3, v[6:7]
	ds_bpermute_b32 v6, v14, v18
	ds_bpermute_b32 v7, v14, v26
	v_add_co_u32_e64 v10, s[0:1], v16, v8
	v_lshlrev_b32_e32 v4, 2, v28
	v_mov_b32_e32 v5, 0
	v_addc_co_u32_e64 v11, s[0:1], v17, v9, s[0:1]
	v_cmp_lt_u64_e64 s[0:1], v[4:5], v[2:3]
	s_and_b64 s[0:1], vcc, s[0:1]
	s_and_saveexec_b64 s[2:3], s[0:1]
	s_cbranch_execz .LBB54_31
; %bb.30:
	v_mad_u64_u32 v[8:9], s[0:1], v4, s12, 0
	v_mov_b32_e32 v16, v9
	v_mad_u64_u32 v[16:17], s[0:1], v4, s13, v[16:17]
	v_mov_b32_e32 v9, v16
	v_lshlrev_b64 v[8:9], 3, v[8:9]
	v_add_co_u32_e64 v8, s[0:1], v10, v8
	v_addc_co_u32_e64 v9, s[0:1], v11, v9, s[0:1]
	global_load_dwordx2 v[16:17], v[8:9], off
	s_waitcnt lgkmcnt(0)
	v_pk_mul_f32 v[18:19], s[30:31], v[6:7]
	v_mul_f32_e32 v7, s30, v7
	v_fmac_f32_e32 v7, s31, v6
	v_sub_f32_e32 v15, v18, v19
	s_waitcnt vmcnt(0)
	v_mul_f32_e32 v6, s29, v17
	v_mul_f32_e32 v17, s28, v17
	v_fma_f32 v6, s28, v16, -v6
	v_fmac_f32_e32 v17, s29, v16
	v_add_f32_e32 v6, v15, v6
	v_add_f32_e32 v7, v7, v17
	global_store_dwordx2 v[8:9], v[6:7], off
.LBB54_31:
	s_or_b64 exec, exec, s[2:3]
	s_waitcnt lgkmcnt(1)
	ds_bpermute_b32 v6, v14, v25
	s_waitcnt lgkmcnt(1)
	ds_bpermute_b32 v7, v14, v27
	v_or_b32_e32 v8, 1, v4
	v_mov_b32_e32 v9, v5
	v_cmp_lt_u64_e64 s[0:1], v[8:9], v[2:3]
	s_and_b64 s[0:1], vcc, s[0:1]
	s_and_saveexec_b64 s[2:3], s[0:1]
	s_cbranch_execz .LBB54_33
; %bb.32:
	v_mad_u64_u32 v[16:17], s[0:1], v8, s12, 0
	v_mov_b32_e32 v18, v17
	v_mad_u64_u32 v[8:9], s[0:1], v8, s13, v[18:19]
	v_mov_b32_e32 v17, v8
	v_lshlrev_b64 v[8:9], 3, v[16:17]
	v_add_co_u32_e64 v8, s[0:1], v10, v8
	v_addc_co_u32_e64 v9, s[0:1], v11, v9, s[0:1]
	global_load_dwordx2 v[16:17], v[8:9], off
	s_waitcnt lgkmcnt(1)
	v_mul_f32_e32 v15, s31, v6
	s_waitcnt lgkmcnt(0)
	v_pk_mul_f32 v[18:19], s[30:31], v[6:7]
	v_fmac_f32_e32 v15, s30, v7
	v_sub_f32_e32 v6, v18, v19
	s_waitcnt vmcnt(0)
	v_mul_f32_e32 v7, s29, v17
	v_mul_f32_e32 v17, s28, v17
	v_fma_f32 v7, s28, v16, -v7
	v_fmac_f32_e32 v17, s29, v16
	v_add_f32_e32 v6, v6, v7
	v_add_f32_e32 v7, v15, v17
	global_store_dwordx2 v[8:9], v[6:7], off
.LBB54_33:
	s_or_b64 exec, exec, s[2:3]
	s_waitcnt lgkmcnt(1)
	ds_bpermute_b32 v6, v14, v12
	s_waitcnt lgkmcnt(1)
	ds_bpermute_b32 v7, v14, v0
	v_or_b32_e32 v8, 2, v4
	v_mov_b32_e32 v9, v5
	v_cmp_lt_u64_e64 s[0:1], v[8:9], v[2:3]
	s_and_b64 s[0:1], vcc, s[0:1]
	s_and_saveexec_b64 s[2:3], s[0:1]
	s_cbranch_execz .LBB54_35
; %bb.34:
	v_mad_u64_u32 v[16:17], s[0:1], v8, s12, 0
	v_mov_b32_e32 v0, v17
	v_mad_u64_u32 v[8:9], s[0:1], v8, s13, v[0:1]
	v_mov_b32_e32 v17, v8
	v_lshlrev_b64 v[8:9], 3, v[16:17]
	v_add_co_u32_e64 v8, s[0:1], v10, v8
	v_addc_co_u32_e64 v9, s[0:1], v11, v9, s[0:1]
	global_load_dwordx2 v[16:17], v[8:9], off
	s_waitcnt lgkmcnt(1)
	v_mul_f32_e32 v0, s31, v6
	s_waitcnt lgkmcnt(0)
	v_pk_mul_f32 v[18:19], s[30:31], v[6:7]
	v_fmac_f32_e32 v0, s30, v7
	v_sub_f32_e32 v6, v18, v19
	s_waitcnt vmcnt(0)
	v_mul_f32_e32 v7, s29, v17
	v_mul_f32_e32 v12, s28, v17
	v_fma_f32 v7, s28, v16, -v7
	v_fmac_f32_e32 v12, s29, v16
	v_add_f32_e32 v6, v6, v7
	v_add_f32_e32 v7, v0, v12
	global_store_dwordx2 v[8:9], v[6:7], off
.LBB54_35:
	s_or_b64 exec, exec, s[2:3]
	ds_bpermute_b32 v0, v14, v13
	ds_bpermute_b32 v1, v14, v1
	v_or_b32_e32 v4, 3, v4
	v_cmp_lt_u64_e64 s[0:1], v[4:5], v[2:3]
	s_and_b64 s[0:1], vcc, s[0:1]
	s_and_b64 exec, exec, s[0:1]
	s_cbranch_execz .LBB54_37
; %bb.36:
	v_mad_u64_u32 v[2:3], s[0:1], v4, s12, 0
	s_waitcnt lgkmcnt(3)
	v_mov_b32_e32 v6, v3
	s_waitcnt lgkmcnt(2)
	v_mad_u64_u32 v[4:5], s[0:1], v4, s13, v[6:7]
	v_mov_b32_e32 v3, v4
	v_lshlrev_b64 v[2:3], 3, v[2:3]
	v_add_co_u32_e32 v2, vcc, v10, v2
	v_addc_co_u32_e32 v3, vcc, v11, v3, vcc
	global_load_dwordx2 v[4:5], v[2:3], off
	s_waitcnt lgkmcnt(0)
	v_pk_mul_f32 v[6:7], s[30:31], v[0:1]
	v_mov_b32_e32 v6, v1
	s_mov_b32 s0, s31
	v_mov_b32_e32 v8, v7
	v_pk_mul_f32 v[6:7], s[30:31], v[6:7] op_sel_hi:[1,0]
	v_pk_fma_f32 v[8:9], s[30:31], v[0:1], v[8:9] neg_lo:[0,0,1] neg_hi:[0,0,1]
	v_pk_fma_f32 v[0:1], s[0:1], v[0:1], v[6:7]
	s_mov_b32 s2, s29
	s_waitcnt vmcnt(0)
	v_pk_mul_f32 v[6:7], s[28:29], v[4:5]
	v_mov_b32_e32 v6, v5
	v_mov_b32_e32 v10, v7
	v_pk_mul_f32 v[6:7], s[28:29], v[6:7]
	v_pk_fma_f32 v[10:11], s[28:29], v[4:5], v[10:11] neg_lo:[0,0,1] neg_hi:[0,0,1]
	v_pk_fma_f32 v[4:5], s[2:3], v[4:5], v[6:7]
	v_pk_add_f32 v[6:7], v[8:9], v[10:11]
	v_pk_add_f32 v[0:1], v[0:1], v[4:5]
	v_mov_b32_e32 v7, v0
	global_store_dwordx2 v[2:3], v[6:7], off
.LBB54_37:
	s_endpgm
	.section	.rodata,"a",@progbits
	.p2align	6, 0x0
	.amdhsa_kernel _ZN9rocsolver6v33100L16mfma_gemm_kernelI19rocblas_complex_numIfElPKS3_PKPS3_S6_S6_EEv18rocblas_operation_S9_T0_SA_SA_T1_T2_lSA_SA_lT3_lSA_SA_lSB_T4_lSA_SA_l
		.amdhsa_group_segment_fixed_size 20480
		.amdhsa_private_segment_fixed_size 0
		.amdhsa_kernarg_size 424
		.amdhsa_user_sgpr_count 8
		.amdhsa_user_sgpr_private_segment_buffer 1
		.amdhsa_user_sgpr_dispatch_ptr 1
		.amdhsa_user_sgpr_queue_ptr 0
		.amdhsa_user_sgpr_kernarg_segment_ptr 1
		.amdhsa_user_sgpr_dispatch_id 0
		.amdhsa_user_sgpr_flat_scratch_init 0
		.amdhsa_user_sgpr_kernarg_preload_length 0
		.amdhsa_user_sgpr_kernarg_preload_offset 0
		.amdhsa_user_sgpr_private_segment_size 0
		.amdhsa_uses_dynamic_stack 0
		.amdhsa_system_sgpr_private_segment_wavefront_offset 0
		.amdhsa_system_sgpr_workgroup_id_x 1
		.amdhsa_system_sgpr_workgroup_id_y 1
		.amdhsa_system_sgpr_workgroup_id_z 1
		.amdhsa_system_sgpr_workgroup_info 0
		.amdhsa_system_vgpr_workitem_id 2
		.amdhsa_next_free_vgpr 51
		.amdhsa_next_free_sgpr 52
		.amdhsa_accum_offset 52
		.amdhsa_reserve_vcc 1
		.amdhsa_reserve_flat_scratch 0
		.amdhsa_float_round_mode_32 0
		.amdhsa_float_round_mode_16_64 0
		.amdhsa_float_denorm_mode_32 3
		.amdhsa_float_denorm_mode_16_64 3
		.amdhsa_dx10_clamp 1
		.amdhsa_ieee_mode 1
		.amdhsa_fp16_overflow 0
		.amdhsa_tg_split 0
		.amdhsa_exception_fp_ieee_invalid_op 0
		.amdhsa_exception_fp_denorm_src 0
		.amdhsa_exception_fp_ieee_div_zero 0
		.amdhsa_exception_fp_ieee_overflow 0
		.amdhsa_exception_fp_ieee_underflow 0
		.amdhsa_exception_fp_ieee_inexact 0
		.amdhsa_exception_int_div_zero 0
	.end_amdhsa_kernel
	.section	.text._ZN9rocsolver6v33100L16mfma_gemm_kernelI19rocblas_complex_numIfElPKS3_PKPS3_S6_S6_EEv18rocblas_operation_S9_T0_SA_SA_T1_T2_lSA_SA_lT3_lSA_SA_lSB_T4_lSA_SA_l,"axG",@progbits,_ZN9rocsolver6v33100L16mfma_gemm_kernelI19rocblas_complex_numIfElPKS3_PKPS3_S6_S6_EEv18rocblas_operation_S9_T0_SA_SA_T1_T2_lSA_SA_lT3_lSA_SA_lSB_T4_lSA_SA_l,comdat
.Lfunc_end54:
	.size	_ZN9rocsolver6v33100L16mfma_gemm_kernelI19rocblas_complex_numIfElPKS3_PKPS3_S6_S6_EEv18rocblas_operation_S9_T0_SA_SA_T1_T2_lSA_SA_lT3_lSA_SA_lSB_T4_lSA_SA_l, .Lfunc_end54-_ZN9rocsolver6v33100L16mfma_gemm_kernelI19rocblas_complex_numIfElPKS3_PKPS3_S6_S6_EEv18rocblas_operation_S9_T0_SA_SA_T1_T2_lSA_SA_lT3_lSA_SA_lSB_T4_lSA_SA_l
                                        ; -- End function
	.section	.AMDGPU.csdata,"",@progbits
; Kernel info:
; codeLenInByte = 2692
; NumSgprs: 56
; NumVgprs: 51
; NumAgprs: 0
; TotalNumVgprs: 51
; ScratchSize: 0
; MemoryBound: 0
; FloatMode: 240
; IeeeMode: 1
; LDSByteSize: 20480 bytes/workgroup (compile time only)
; SGPRBlocks: 6
; VGPRBlocks: 6
; NumSGPRsForWavesPerEU: 56
; NumVGPRsForWavesPerEU: 51
; AccumOffset: 52
; Occupancy: 8
; WaveLimiterHint : 0
; COMPUTE_PGM_RSRC2:SCRATCH_EN: 0
; COMPUTE_PGM_RSRC2:USER_SGPR: 8
; COMPUTE_PGM_RSRC2:TRAP_HANDLER: 0
; COMPUTE_PGM_RSRC2:TGID_X_EN: 1
; COMPUTE_PGM_RSRC2:TGID_Y_EN: 1
; COMPUTE_PGM_RSRC2:TGID_Z_EN: 1
; COMPUTE_PGM_RSRC2:TIDIG_COMP_CNT: 2
; COMPUTE_PGM_RSRC3_GFX90A:ACCUM_OFFSET: 12
; COMPUTE_PGM_RSRC3_GFX90A:TG_SPLIT: 0
	.section	.text._ZN9rocsolver6v33100L16mfma_gemm_kernelI19rocblas_complex_numIfElS3_PKPS3_S4_S4_EEv18rocblas_operation_S7_T0_S8_S8_T1_T2_lS8_S8_lT3_lS8_S8_lS9_T4_lS8_S8_l,"axG",@progbits,_ZN9rocsolver6v33100L16mfma_gemm_kernelI19rocblas_complex_numIfElS3_PKPS3_S4_S4_EEv18rocblas_operation_S7_T0_S8_S8_T1_T2_lS8_S8_lT3_lS8_S8_lS9_T4_lS8_S8_l,comdat
	.globl	_ZN9rocsolver6v33100L16mfma_gemm_kernelI19rocblas_complex_numIfElS3_PKPS3_S4_S4_EEv18rocblas_operation_S7_T0_S8_S8_T1_T2_lS8_S8_lT3_lS8_S8_lS9_T4_lS8_S8_l ; -- Begin function _ZN9rocsolver6v33100L16mfma_gemm_kernelI19rocblas_complex_numIfElS3_PKPS3_S4_S4_EEv18rocblas_operation_S7_T0_S8_S8_T1_T2_lS8_S8_lT3_lS8_S8_lS9_T4_lS8_S8_l
	.p2align	8
	.type	_ZN9rocsolver6v33100L16mfma_gemm_kernelI19rocblas_complex_numIfElS3_PKPS3_S4_S4_EEv18rocblas_operation_S7_T0_S8_S8_T1_T2_lS8_S8_lT3_lS8_S8_lS9_T4_lS8_S8_l,@function
_ZN9rocsolver6v33100L16mfma_gemm_kernelI19rocblas_complex_numIfElS3_PKPS3_S4_S4_EEv18rocblas_operation_S7_T0_S8_S8_T1_T2_lS8_S8_lT3_lS8_S8_lS9_T4_lS8_S8_l: ; @_ZN9rocsolver6v33100L16mfma_gemm_kernelI19rocblas_complex_numIfElS3_PKPS3_S4_S4_EEv18rocblas_operation_S7_T0_S8_S8_T1_T2_lS8_S8_lT3_lS8_S8_lS9_T4_lS8_S8_l
; %bb.0:
	s_load_dword s0, s[6:7], 0xb4
	s_load_dwordx4 s[12:15], s[6:7], 0x8
	v_and_b32_e32 v1, 0x3ff, v0
	v_lshrrev_b32_e32 v2, 6, v1
	v_mov_b32_e32 v3, 0
	s_waitcnt lgkmcnt(0)
	s_lshr_b32 s2, s0, 16
	s_bfe_u32 s0, s0, 0xa0006
	v_mov_b32_e32 v4, s8
	v_bfe_u32 v8, v0, 10, 10
	v_mov_b32_e32 v9, v3
	v_mad_u64_u32 v[16:17], s[0:1], s0, v4, v[2:3]
	v_mov_b32_e32 v2, s9
	v_mad_u64_u32 v[20:21], s[0:1], s2, v2, v[8:9]
	v_lshlrev_b64 v[4:5], 4, v[16:17]
	v_lshlrev_b64 v[6:7], 4, v[20:21]
	v_cmp_gt_i64_e32 vcc, s[12:13], v[4:5]
	v_cmp_gt_i64_e64 s[0:1], s[14:15], v[6:7]
	s_mov_b32 s11, 0
	s_and_b64 s[0:1], vcc, s[0:1]
	s_and_saveexec_b64 s[2:3], s[0:1]
	s_cbranch_execz .LBB55_37
; %bb.1:
	s_load_dwordx2 s[0:1], s[4:5], 0x4
	v_bfe_u32 v0, v0, 20, 10
	s_load_dwordx4 s[28:31], s[6:7], 0x18
	s_load_dwordx2 s[34:35], s[6:7], 0x78
	v_bfe_u32 v10, v1, 2, 4
	v_mov_b32_e32 v11, v3
	s_waitcnt lgkmcnt(0)
	s_lshr_b32 s0, s0, 16
	s_mul_i32 s0, s0, s1
	v_mul_u32_u24_e32 v2, s1, v8
	v_mul_lo_u32 v8, s0, v1
	v_add3_u32 v0, v8, v2, v0
	v_add_co_u32_e32 v8, vcc, 16, v4
	v_addc_co_u32_e32 v9, vcc, 0, v5, vcc
	s_and_b32 s0, s12, 15
	v_mul_lo_u32 v30, v0, 20
	v_mov_b32_e32 v0, s0
	v_cmp_lt_u64_e32 vcc, s[12:13], v[8:9]
	v_cndmask_b32_e32 v2, 16, v0, vcc
	v_add_co_u32_e32 v8, vcc, 16, v6
	v_addc_co_u32_e32 v9, vcc, 0, v7, vcc
	s_and_b32 s0, s14, 15
	v_mov_b32_e32 v0, s0
	v_cmp_lt_u64_e32 vcc, s[14:15], v[8:9]
	v_cndmask_b32_e32 v8, 16, v0, vcc
	v_mov_b32_e32 v9, v3
	v_cmp_lt_i64_e64 s[0:1], s[28:29], 1
	v_and_b32_e32 v15, 63, v1
	v_and_b32_e32 v28, 3, v1
	s_and_b64 vcc, exec, s[0:1]
	v_cmp_lt_u64_e64 s[0:1], v[10:11], v[8:9]
	v_mbcnt_lo_u32_b32 v29, -1, 0
	v_mov_b32_e32 v13, v3
	v_mov_b32_e32 v0, v3
	v_mov_b32_e32 v25, v3
	v_mov_b32_e32 v26, v3
	v_mov_b32_e32 v12, v3
	v_mov_b32_e32 v27, v3
	v_mov_b32_e32 v1, v3
	v_mov_b32_e32 v18, v3
	ds_write2_b32 v30, v3, v3 offset0:2 offset1:3
	ds_write2_b32 v30, v3, v3 offset1:1
	ds_write_b32 v30, v3 offset:16
	s_cbranch_vccnz .LBB55_29
; %bb.2:
	s_load_dwordx8 s[20:27], s[6:7], 0x28
	s_load_dwordx2 s[40:41], s[6:7], 0x0
	s_lshl_b64 s[2:3], s[10:11], 3
	s_load_dwordx8 s[12:19], s[6:7], 0x50
	v_lshrrev_b32_e32 v14, 4, v15
	s_waitcnt lgkmcnt(0)
	s_add_u32 s2, s20, s2
	s_addc_u32 s3, s21, s3
	s_cmpk_lg_i32 s40, 0x6f
	s_cselect_b64 s[20:21], -1, 0
	s_cmpk_lg_i32 s41, 0x6f
	s_cselect_b64 s[36:37], -1, 0
	s_cmpk_eq_i32 s41, 0x6f
	s_cselect_b32 s11, s18, s16
	s_cselect_b32 s33, s19, s17
	s_cmpk_eq_i32 s40, 0x6f
	s_cselect_b32 s46, s24, s26
	s_cselect_b32 s47, s25, s27
	v_mul_lo_u32 v18, s47, v16
	v_mul_lo_u32 v17, s46, v17
	v_mad_u64_u32 v[12:13], s[46:47], s46, v16, 0
	v_add3_u32 v13, v13, v17, v18
	v_mad_u64_u32 v[16:17], s[46:47], s26, v14, 0
	v_mov_b32_e32 v18, v17
	v_mad_u64_u32 v[18:19], s[46:47], s27, v14, v[18:19]
	v_mov_b32_e32 v17, v18
	v_lshlrev_b64 v[12:13], 7, v[12:13]
	v_lshlrev_b64 v[16:17], 3, v[16:17]
	v_and_b32_e32 v0, 15, v15
	v_add_co_u32_e32 v22, vcc, v12, v16
	s_load_dwordx2 s[42:43], s[2:3], 0x0
	v_addc_co_u32_e32 v23, vcc, v13, v17, vcc
	v_mad_u64_u32 v[16:17], s[46:47], s24, v0, 0
	v_mov_b32_e32 v18, v17
	s_cmpk_eq_i32 s40, 0x71
	v_mad_u64_u32 v[18:19], s[46:47], s25, v0, v[18:19]
	s_cselect_b64 s[38:39], -1, 0
	s_cmpk_eq_i32 s41, 0x71
	v_mov_b32_e32 v17, v18
	s_cselect_b64 s[40:41], -1, 0
	v_lshlrev_b64 v[16:17], 3, v[16:17]
	s_lshl_b64 s[22:23], s[22:23], 3
	v_add_co_u32_e32 v16, vcc, v22, v16
	s_waitcnt lgkmcnt(0)
	s_add_u32 s46, s42, s22
	v_addc_co_u32_e32 v17, vcc, v23, v17, vcc
	s_addc_u32 s47, s43, s23
	v_mov_b32_e32 v18, s47
	v_add_co_u32_e32 v16, vcc, s46, v16
	v_addc_co_u32_e32 v17, vcc, v18, v17, vcc
	v_mad_u64_u32 v[18:19], s[42:43], s26, v10, 0
	v_mov_b32_e32 v22, v19
	s_lshl_b64 s[22:23], s[26:27], 5
	v_mad_u64_u32 v[22:23], s[26:27], s27, v10, v[22:23]
	v_mov_b32_e32 v19, v22
	v_lshlrev_b64 v[18:19], 3, v[18:19]
	v_add_co_u32_e32 v22, vcc, v12, v18
	v_addc_co_u32_e32 v23, vcc, v13, v19, vcc
	v_mad_u64_u32 v[12:13], s[26:27], s24, v28, 0
	v_mov_b32_e32 v18, v13
	v_mad_u64_u32 v[18:19], s[26:27], s25, v28, v[18:19]
	v_mov_b32_e32 v13, v18
	v_lshlrev_b64 v[12:13], 3, v[12:13]
	v_add_co_u32_e32 v12, vcc, v22, v12
	v_addc_co_u32_e32 v13, vcc, v23, v13, vcc
	v_mov_b32_e32 v19, s47
	v_add_co_u32_e32 v18, vcc, s46, v12
	s_load_dwordx2 s[44:45], s[6:7], 0x70
	v_addc_co_u32_e32 v19, vcc, v19, v13, vcc
	v_mul_lo_u32 v22, s33, v20
	v_mul_lo_u32 v21, s11, v21
	v_mad_u64_u32 v[12:13], s[26:27], s11, v20, 0
	v_add3_u32 v13, v13, v21, v22
	v_mad_u64_u32 v[20:21], s[26:27], s18, v10, 0
	v_mov_b32_e32 v22, v21
	v_mad_u64_u32 v[22:23], s[26:27], s19, v10, v[22:23]
	v_mov_b32_e32 v21, v22
	v_lshlrev_b64 v[12:13], 7, v[12:13]
	v_lshlrev_b64 v[20:21], 3, v[20:21]
	s_waitcnt lgkmcnt(0)
	s_mul_i32 s11, s45, s10
	s_mul_hi_u32 s26, s44, s10
	v_add_co_u32_e32 v20, vcc, v12, v20
	s_add_i32 s27, s26, s11
	s_mul_i32 s26, s44, s10
	v_addc_co_u32_e32 v21, vcc, v13, v21, vcc
	s_lshl_b64 s[26:27], s[26:27], 3
	v_mov_b32_e32 v27, s27
	v_add_co_u32_e32 v24, vcc, s26, v20
	v_addc_co_u32_e32 v25, vcc, v21, v27, vcc
	v_mad_u64_u32 v[20:21], s[42:43], s16, v28, 0
	v_mov_b32_e32 v22, v21
	v_mad_u64_u32 v[22:23], s[42:43], s17, v28, v[22:23]
	v_mov_b32_e32 v21, v22
	s_lshl_b64 s[24:25], s[24:25], 5
	v_lshlrev_b64 v[20:21], 3, v[20:21]
	s_lshl_b64 s[14:15], s[14:15], 3
	v_add_co_u32_e32 v20, vcc, v24, v20
	s_add_u32 s11, s12, s14
	v_addc_co_u32_e32 v21, vcc, v25, v21, vcc
	s_addc_u32 s27, s13, s15
	v_mov_b32_e32 v22, s27
	v_add_co_u32_e32 v20, vcc, s11, v20
	v_addc_co_u32_e32 v21, vcc, v22, v21, vcc
	v_mad_u64_u32 v[22:23], s[14:15], s18, v14, 0
	v_mov_b32_e32 v24, v23
	v_mad_u64_u32 v[24:25], s[14:15], s19, v14, v[24:25]
	v_mov_b32_e32 v23, v24
	v_lshlrev_b64 v[22:23], 3, v[22:23]
	v_add_co_u32_e32 v12, vcc, v12, v22
	v_addc_co_u32_e32 v13, vcc, v13, v23, vcc
	v_add_co_u32_e32 v24, vcc, s26, v12
	v_addc_co_u32_e32 v25, vcc, v13, v27, vcc
	v_mad_u64_u32 v[12:13], s[14:15], s16, v0, 0
	v_mov_b32_e32 v22, v13
	v_mad_u64_u32 v[22:23], s[14:15], s17, v0, v[22:23]
	v_mov_b32_e32 v13, v22
	v_mov_b32_e32 v1, 0
	v_lshlrev_b64 v[12:13], 3, v[12:13]
	v_lshl_or_b32 v26, v0, 2, v14
	v_cmp_lt_u64_e64 s[4:5], v[0:1], v[2:3]
	v_cmp_lt_u64_e64 s[8:9], v[0:1], v[8:9]
	v_add_co_u32_e32 v0, vcc, v24, v12
	v_addc_co_u32_e32 v12, vcc, v25, v13, vcc
	v_add_co_u32_e32 v22, vcc, s11, v0
	v_mbcnt_hi_u32_b32 v0, -1, v29
	v_mov_b32_e32 v13, s27
	v_and_or_b32 v0, v0, 64, v26
	v_cmp_lt_u64_e64 s[2:3], v[10:11], v[2:3]
	s_lshl_b64 s[12:13], s[16:17], 5
	v_addc_co_u32_e32 v23, vcc, v13, v12, vcc
	s_lshl_b64 s[14:15], s[18:19], 5
	s_mov_b64 s[16:17], 0
	v_lshlrev_b32_e32 v31, 2, v0
	v_mov_b32_e32 v12, v1
	v_mov_b32_e32 v0, v1
	;; [unrolled: 1-line block ×3, first 2 shown]
	s_branch .LBB55_6
.LBB55_3:                               ;   in Loop: Header=BB55_6 Depth=1
	s_or_b64 exec, exec, s[26:27]
.LBB55_4:                               ;   in Loop: Header=BB55_6 Depth=1
	s_or_b64 exec, exec, s[18:19]
	s_waitcnt vmcnt(0)
	ds_bpermute_b32 v26, v31, v26
	ds_bpermute_b32 v27, v31, v27
.LBB55_5:                               ;   in Loop: Header=BB55_6 Depth=1
	s_waitcnt vmcnt(0) lgkmcnt(0)
	v_cndmask_b32_e64 v50, v25, -v25, s[38:39]
	v_cndmask_b32_e64 v27, v27, -v27, s[40:41]
	v_mfma_f32_16x16x4f32 v[32:35], v24, v26, 0
	v_add_co_u32_e32 v16, vcc, s22, v16
	s_add_u32 s16, s16, 4
	s_addc_u32 s17, s17, 0
	v_mfma_f32_16x16x4f32 v[40:43], v50, v27, 0
	v_mfma_f32_16x16x4f32 v[36:39], v24, v27, 0
	ds_read2_b32 v[24:25], v30 offset1:1
	ds_read2_b32 v[44:45], v30 offset0:3 offset1:4
	ds_read2_b32 v[46:47], v30 offset0:2 offset1:3
	;; [unrolled: 1-line block ×3, first 2 shown]
	s_nop 5
	v_sub_f32_e32 v35, v35, v43
	v_sub_f32_e32 v34, v34, v42
	;; [unrolled: 1-line block ×4, first 2 shown]
	s_waitcnt lgkmcnt(1)
	v_mov_b32_e32 v25, v46
	v_pk_add_f32 v[24:25], v[24:25], v[32:33]
	v_pk_add_f32 v[12:13], v[12:13], v[34:35]
	v_mfma_f32_16x16x4f32 v[32:35], v50, v26, 0
	s_waitcnt lgkmcnt(0)
	v_mov_b32_e32 v49, v44
	s_nop 7
	s_nop 0
	v_pk_add_f32 v[26:27], v[38:39], v[34:35]
	v_pk_add_f32 v[32:33], v[36:37], v[32:33]
	;; [unrolled: 1-line block ×4, first 2 shown]
	ds_write2_b32 v30, v24, v26 offset1:1
	ds_write2_b32 v30, v25, v27 offset0:2 offset1:3
	ds_write_b32 v30, v12 offset:16
	v_mov_b32_e32 v24, s23
	v_addc_co_u32_e32 v17, vcc, v17, v24, vcc
	v_mov_b32_e32 v24, s25
	v_add_co_u32_e32 v18, vcc, s24, v18
	v_addc_co_u32_e32 v19, vcc, v19, v24, vcc
	v_mov_b32_e32 v24, s13
	v_add_co_u32_e32 v20, vcc, s12, v20
	;; [unrolled: 3-line block ×3, first 2 shown]
	v_addc_co_u32_e32 v23, vcc, v23, v24, vcc
	v_pk_mov_b32 v[32:33], s[28:29], s[28:29] op_sel:[0,1]
	v_cmp_ge_i64_e32 vcc, s[16:17], v[32:33]
	s_cbranch_vccnz .LBB55_28
.LBB55_6:                               ; =>This Inner Loop Header: Depth=1
	s_and_b64 vcc, exec, s[20:21]
	s_cbranch_vccz .LBB55_18
; %bb.7:                                ;   in Loop: Header=BB55_6 Depth=1
	v_mov_b32_e32 v24, 0
	v_mov_b32_e32 v25, 0
	s_and_saveexec_b64 s[18:19], s[2:3]
	s_cbranch_execz .LBB55_11
; %bb.8:                                ;   in Loop: Header=BB55_6 Depth=1
	v_mov_b32_e32 v25, s17
	v_add_co_u32_e32 v24, vcc, s16, v28
	v_addc_co_u32_e32 v25, vcc, 0, v25, vcc
	v_cmp_gt_i64_e32 vcc, s[28:29], v[24:25]
	v_mov_b32_e32 v25, 0
	v_mov_b32_e32 v24, 0
	s_and_saveexec_b64 s[26:27], vcc
	s_cbranch_execz .LBB55_10
; %bb.9:                                ;   in Loop: Header=BB55_6 Depth=1
	global_load_dwordx2 v[24:25], v[18:19], off
.LBB55_10:                              ;   in Loop: Header=BB55_6 Depth=1
	s_or_b64 exec, exec, s[26:27]
.LBB55_11:                              ;   in Loop: Header=BB55_6 Depth=1
	s_or_b64 exec, exec, s[18:19]
	s_waitcnt vmcnt(0)
	ds_bpermute_b32 v24, v31, v24
	ds_bpermute_b32 v25, v31, v25
.LBB55_12:                              ;   in Loop: Header=BB55_6 Depth=1
	s_and_b64 vcc, exec, s[36:37]
	s_cbranch_vccz .LBB55_24
.LBB55_13:                              ;   in Loop: Header=BB55_6 Depth=1
	v_mov_b32_e32 v27, 0
	v_mov_b32_e32 v26, 0
	s_and_saveexec_b64 s[18:19], s[8:9]
	s_cbranch_execz .LBB55_17
; %bb.14:                               ;   in Loop: Header=BB55_6 Depth=1
	v_mov_b32_e32 v27, s17
	v_add_co_u32_e32 v26, vcc, s16, v14
	v_addc_co_u32_e32 v27, vcc, 0, v27, vcc
	v_cmp_gt_i64_e32 vcc, s[28:29], v[26:27]
	v_mov_b32_e32 v27, 0
	v_mov_b32_e32 v26, 0
	s_and_saveexec_b64 s[26:27], vcc
	s_cbranch_execz .LBB55_16
; %bb.15:                               ;   in Loop: Header=BB55_6 Depth=1
	global_load_dwordx2 v[26:27], v[22:23], off
.LBB55_16:                              ;   in Loop: Header=BB55_6 Depth=1
	s_or_b64 exec, exec, s[26:27]
.LBB55_17:                              ;   in Loop: Header=BB55_6 Depth=1
	s_or_b64 exec, exec, s[18:19]
	s_cbranch_execnz .LBB55_5
	s_branch .LBB55_25
.LBB55_18:                              ;   in Loop: Header=BB55_6 Depth=1
                                        ; implicit-def: $vgpr25
	s_cbranch_execz .LBB55_12
; %bb.19:                               ;   in Loop: Header=BB55_6 Depth=1
	s_waitcnt lgkmcnt(0)
	v_mov_b32_e32 v25, 0
	v_mov_b32_e32 v24, 0
	s_and_saveexec_b64 s[18:19], s[4:5]
	s_cbranch_execz .LBB55_23
; %bb.20:                               ;   in Loop: Header=BB55_6 Depth=1
	v_mov_b32_e32 v25, s17
	v_add_co_u32_e32 v24, vcc, s16, v14
	v_addc_co_u32_e32 v25, vcc, 0, v25, vcc
	v_cmp_gt_i64_e32 vcc, s[28:29], v[24:25]
	v_mov_b32_e32 v25, 0
	v_mov_b32_e32 v24, 0
	s_and_saveexec_b64 s[26:27], vcc
	s_cbranch_execz .LBB55_22
; %bb.21:                               ;   in Loop: Header=BB55_6 Depth=1
	global_load_dwordx2 v[24:25], v[16:17], off
.LBB55_22:                              ;   in Loop: Header=BB55_6 Depth=1
	s_or_b64 exec, exec, s[26:27]
.LBB55_23:                              ;   in Loop: Header=BB55_6 Depth=1
	s_or_b64 exec, exec, s[18:19]
	s_and_b64 vcc, exec, s[36:37]
	s_cbranch_vccnz .LBB55_13
.LBB55_24:                              ;   in Loop: Header=BB55_6 Depth=1
                                        ; implicit-def: $vgpr27
.LBB55_25:                              ;   in Loop: Header=BB55_6 Depth=1
	s_waitcnt vmcnt(0)
	v_mov_b32_e32 v26, 0
	v_mov_b32_e32 v27, 0
	s_and_saveexec_b64 s[18:19], s[0:1]
	s_cbranch_execz .LBB55_4
; %bb.26:                               ;   in Loop: Header=BB55_6 Depth=1
	v_mov_b32_e32 v27, s17
	v_add_co_u32_e32 v26, vcc, s16, v28
	v_addc_co_u32_e32 v27, vcc, 0, v27, vcc
	v_cmp_gt_i64_e32 vcc, s[28:29], v[26:27]
	v_mov_b32_e32 v27, 0
	v_mov_b32_e32 v26, 0
	s_and_saveexec_b64 s[26:27], vcc
	s_cbranch_execz .LBB55_3
; %bb.27:                               ;   in Loop: Header=BB55_6 Depth=1
	global_load_dwordx2 v[26:27], v[20:21], off
	s_branch .LBB55_3
.LBB55_28:
	ds_read_b32 v18, v30
.LBB55_29:
	s_load_dwordx2 s[0:1], s[6:7], 0xa0
	s_load_dwordx8 s[12:19], s[6:7], 0x80
	s_waitcnt lgkmcnt(0)
	s_mul_i32 s1, s10, s1
	s_mul_hi_u32 s2, s10, s0
	s_mul_i32 s0, s10, s0
	s_add_i32 s1, s2, s1
	s_lshl_b64 s[0:1], s[0:1], 3
	s_add_u32 s2, s12, s0
	s_addc_u32 s3, s13, s1
	s_lshl_b64 s[0:1], s[14:15], 3
	s_add_u32 s2, s2, s0
	s_addc_u32 s3, s3, s1
	v_mul_lo_u32 v14, v7, s18
	v_mul_lo_u32 v16, v6, s19
	v_mad_u64_u32 v[6:7], s[0:1], v6, s18, 0
	v_add3_u32 v7, v7, v16, v14
	v_mul_lo_u32 v14, v5, s16
	v_mul_lo_u32 v16, v4, s17
	v_mad_u64_u32 v[4:5], s[0:1], v4, s16, 0
	v_lshlrev_b64 v[6:7], 3, v[6:7]
	v_add3_u32 v5, v5, v16, v14
	v_mov_b32_e32 v14, s3
	v_add_co_u32_e32 v6, vcc, s2, v6
	v_addc_co_u32_e32 v7, vcc, v14, v7, vcc
	v_lshlrev_b64 v[4:5], 3, v[4:5]
	v_add_co_u32_e32 v16, vcc, v6, v4
	v_lshl_or_b32 v6, v15, 4, v10
	v_addc_co_u32_e32 v17, vcc, v7, v5, vcc
	v_mbcnt_hi_u32_b32 v7, -1, v29
	v_and_b32_e32 v6, 63, v6
	v_and_or_b32 v6, v7, 64, v6
	v_lshlrev_b32_e32 v14, 2, v6
	v_mad_u64_u32 v[6:7], s[0:1], v10, s18, 0
	v_cmp_lt_u64_e32 vcc, v[10:11], v[8:9]
	v_mov_b32_e32 v8, v7
	v_mad_u64_u32 v[8:9], s[0:1], v10, s19, v[8:9]
	v_mov_b32_e32 v7, v8
	v_lshlrev_b64 v[8:9], 3, v[6:7]
	ds_bpermute_b32 v6, v14, v18
	ds_bpermute_b32 v7, v14, v26
	v_add_co_u32_e64 v10, s[0:1], v16, v8
	v_lshlrev_b32_e32 v4, 2, v28
	v_mov_b32_e32 v5, 0
	v_addc_co_u32_e64 v11, s[0:1], v17, v9, s[0:1]
	v_cmp_lt_u64_e64 s[0:1], v[4:5], v[2:3]
	s_and_b64 s[0:1], vcc, s[0:1]
	s_and_saveexec_b64 s[2:3], s[0:1]
	s_cbranch_execz .LBB55_31
; %bb.30:
	v_mad_u64_u32 v[8:9], s[0:1], v4, s16, 0
	v_mov_b32_e32 v16, v9
	v_mad_u64_u32 v[16:17], s[0:1], v4, s17, v[16:17]
	v_mov_b32_e32 v9, v16
	v_lshlrev_b64 v[8:9], 3, v[8:9]
	v_add_co_u32_e64 v8, s[0:1], v10, v8
	v_addc_co_u32_e64 v9, s[0:1], v11, v9, s[0:1]
	global_load_dwordx2 v[16:17], v[8:9], off
	s_waitcnt lgkmcnt(0)
	v_pk_mul_f32 v[18:19], s[30:31], v[6:7]
	v_mul_f32_e32 v7, s30, v7
	v_fmac_f32_e32 v7, s31, v6
	v_sub_f32_e32 v15, v18, v19
	s_waitcnt vmcnt(0)
	v_mul_f32_e32 v6, s35, v17
	v_mul_f32_e32 v17, s34, v17
	v_fma_f32 v6, s34, v16, -v6
	v_fmac_f32_e32 v17, s35, v16
	v_add_f32_e32 v6, v15, v6
	v_add_f32_e32 v7, v7, v17
	global_store_dwordx2 v[8:9], v[6:7], off
.LBB55_31:
	s_or_b64 exec, exec, s[2:3]
	s_waitcnt lgkmcnt(1)
	ds_bpermute_b32 v6, v14, v25
	s_waitcnt lgkmcnt(1)
	ds_bpermute_b32 v7, v14, v27
	v_or_b32_e32 v8, 1, v4
	v_mov_b32_e32 v9, v5
	v_cmp_lt_u64_e64 s[0:1], v[8:9], v[2:3]
	s_and_b64 s[0:1], vcc, s[0:1]
	s_and_saveexec_b64 s[2:3], s[0:1]
	s_cbranch_execz .LBB55_33
; %bb.32:
	v_mad_u64_u32 v[16:17], s[0:1], v8, s16, 0
	v_mov_b32_e32 v18, v17
	v_mad_u64_u32 v[8:9], s[0:1], v8, s17, v[18:19]
	v_mov_b32_e32 v17, v8
	v_lshlrev_b64 v[8:9], 3, v[16:17]
	v_add_co_u32_e64 v8, s[0:1], v10, v8
	v_addc_co_u32_e64 v9, s[0:1], v11, v9, s[0:1]
	global_load_dwordx2 v[16:17], v[8:9], off
	s_waitcnt lgkmcnt(1)
	v_mul_f32_e32 v15, s31, v6
	s_waitcnt lgkmcnt(0)
	v_pk_mul_f32 v[18:19], s[30:31], v[6:7]
	v_fmac_f32_e32 v15, s30, v7
	v_sub_f32_e32 v6, v18, v19
	s_waitcnt vmcnt(0)
	v_mul_f32_e32 v7, s35, v17
	v_mul_f32_e32 v17, s34, v17
	v_fma_f32 v7, s34, v16, -v7
	v_fmac_f32_e32 v17, s35, v16
	v_add_f32_e32 v6, v6, v7
	v_add_f32_e32 v7, v15, v17
	global_store_dwordx2 v[8:9], v[6:7], off
.LBB55_33:
	s_or_b64 exec, exec, s[2:3]
	s_waitcnt lgkmcnt(1)
	ds_bpermute_b32 v6, v14, v12
	s_waitcnt lgkmcnt(1)
	ds_bpermute_b32 v7, v14, v0
	v_or_b32_e32 v8, 2, v4
	v_mov_b32_e32 v9, v5
	v_cmp_lt_u64_e64 s[0:1], v[8:9], v[2:3]
	s_and_b64 s[0:1], vcc, s[0:1]
	s_and_saveexec_b64 s[2:3], s[0:1]
	s_cbranch_execz .LBB55_35
; %bb.34:
	v_mad_u64_u32 v[16:17], s[0:1], v8, s16, 0
	v_mov_b32_e32 v0, v17
	v_mad_u64_u32 v[8:9], s[0:1], v8, s17, v[0:1]
	v_mov_b32_e32 v17, v8
	v_lshlrev_b64 v[8:9], 3, v[16:17]
	v_add_co_u32_e64 v8, s[0:1], v10, v8
	v_addc_co_u32_e64 v9, s[0:1], v11, v9, s[0:1]
	global_load_dwordx2 v[16:17], v[8:9], off
	s_waitcnt lgkmcnt(1)
	v_mul_f32_e32 v0, s31, v6
	s_waitcnt lgkmcnt(0)
	v_pk_mul_f32 v[18:19], s[30:31], v[6:7]
	v_fmac_f32_e32 v0, s30, v7
	v_sub_f32_e32 v6, v18, v19
	s_waitcnt vmcnt(0)
	v_mul_f32_e32 v7, s35, v17
	v_mul_f32_e32 v12, s34, v17
	v_fma_f32 v7, s34, v16, -v7
	v_fmac_f32_e32 v12, s35, v16
	v_add_f32_e32 v6, v6, v7
	v_add_f32_e32 v7, v0, v12
	global_store_dwordx2 v[8:9], v[6:7], off
.LBB55_35:
	s_or_b64 exec, exec, s[2:3]
	ds_bpermute_b32 v0, v14, v13
	ds_bpermute_b32 v1, v14, v1
	v_or_b32_e32 v4, 3, v4
	v_cmp_lt_u64_e64 s[0:1], v[4:5], v[2:3]
	s_and_b64 s[0:1], vcc, s[0:1]
	s_and_b64 exec, exec, s[0:1]
	s_cbranch_execz .LBB55_37
; %bb.36:
	v_mad_u64_u32 v[2:3], s[0:1], v4, s16, 0
	s_waitcnt lgkmcnt(3)
	v_mov_b32_e32 v6, v3
	s_waitcnt lgkmcnt(2)
	v_mad_u64_u32 v[4:5], s[0:1], v4, s17, v[6:7]
	v_mov_b32_e32 v3, v4
	v_lshlrev_b64 v[2:3], 3, v[2:3]
	v_add_co_u32_e32 v2, vcc, v10, v2
	v_addc_co_u32_e32 v3, vcc, v11, v3, vcc
	global_load_dwordx2 v[4:5], v[2:3], off
	s_waitcnt lgkmcnt(0)
	v_pk_mul_f32 v[6:7], s[30:31], v[0:1]
	v_mov_b32_e32 v6, v1
	s_mov_b32 s0, s31
	v_mov_b32_e32 v8, v7
	v_pk_mul_f32 v[6:7], s[30:31], v[6:7] op_sel_hi:[1,0]
	v_pk_fma_f32 v[8:9], s[30:31], v[0:1], v[8:9] neg_lo:[0,0,1] neg_hi:[0,0,1]
	v_pk_fma_f32 v[0:1], s[0:1], v[0:1], v[6:7]
	s_mov_b32 s2, s35
	s_waitcnt vmcnt(0)
	v_pk_mul_f32 v[6:7], s[34:35], v[4:5]
	v_mov_b32_e32 v6, v5
	v_mov_b32_e32 v10, v7
	v_pk_mul_f32 v[6:7], s[34:35], v[6:7]
	v_pk_fma_f32 v[10:11], s[34:35], v[4:5], v[10:11] neg_lo:[0,0,1] neg_hi:[0,0,1]
	v_pk_fma_f32 v[4:5], s[2:3], v[4:5], v[6:7]
	v_pk_add_f32 v[6:7], v[8:9], v[10:11]
	v_pk_add_f32 v[0:1], v[0:1], v[4:5]
	v_mov_b32_e32 v7, v0
	global_store_dwordx2 v[2:3], v[6:7], off
.LBB55_37:
	s_endpgm
	.section	.rodata,"a",@progbits
	.p2align	6, 0x0
	.amdhsa_kernel _ZN9rocsolver6v33100L16mfma_gemm_kernelI19rocblas_complex_numIfElS3_PKPS3_S4_S4_EEv18rocblas_operation_S7_T0_S8_S8_T1_T2_lS8_S8_lT3_lS8_S8_lS9_T4_lS8_S8_l
		.amdhsa_group_segment_fixed_size 20480
		.amdhsa_private_segment_fixed_size 0
		.amdhsa_kernarg_size 424
		.amdhsa_user_sgpr_count 8
		.amdhsa_user_sgpr_private_segment_buffer 1
		.amdhsa_user_sgpr_dispatch_ptr 1
		.amdhsa_user_sgpr_queue_ptr 0
		.amdhsa_user_sgpr_kernarg_segment_ptr 1
		.amdhsa_user_sgpr_dispatch_id 0
		.amdhsa_user_sgpr_flat_scratch_init 0
		.amdhsa_user_sgpr_kernarg_preload_length 0
		.amdhsa_user_sgpr_kernarg_preload_offset 0
		.amdhsa_user_sgpr_private_segment_size 0
		.amdhsa_uses_dynamic_stack 0
		.amdhsa_system_sgpr_private_segment_wavefront_offset 0
		.amdhsa_system_sgpr_workgroup_id_x 1
		.amdhsa_system_sgpr_workgroup_id_y 1
		.amdhsa_system_sgpr_workgroup_id_z 1
		.amdhsa_system_sgpr_workgroup_info 0
		.amdhsa_system_vgpr_workitem_id 2
		.amdhsa_next_free_vgpr 51
		.amdhsa_next_free_sgpr 48
		.amdhsa_accum_offset 52
		.amdhsa_reserve_vcc 1
		.amdhsa_reserve_flat_scratch 0
		.amdhsa_float_round_mode_32 0
		.amdhsa_float_round_mode_16_64 0
		.amdhsa_float_denorm_mode_32 3
		.amdhsa_float_denorm_mode_16_64 3
		.amdhsa_dx10_clamp 1
		.amdhsa_ieee_mode 1
		.amdhsa_fp16_overflow 0
		.amdhsa_tg_split 0
		.amdhsa_exception_fp_ieee_invalid_op 0
		.amdhsa_exception_fp_denorm_src 0
		.amdhsa_exception_fp_ieee_div_zero 0
		.amdhsa_exception_fp_ieee_overflow 0
		.amdhsa_exception_fp_ieee_underflow 0
		.amdhsa_exception_fp_ieee_inexact 0
		.amdhsa_exception_int_div_zero 0
	.end_amdhsa_kernel
	.section	.text._ZN9rocsolver6v33100L16mfma_gemm_kernelI19rocblas_complex_numIfElS3_PKPS3_S4_S4_EEv18rocblas_operation_S7_T0_S8_S8_T1_T2_lS8_S8_lT3_lS8_S8_lS9_T4_lS8_S8_l,"axG",@progbits,_ZN9rocsolver6v33100L16mfma_gemm_kernelI19rocblas_complex_numIfElS3_PKPS3_S4_S4_EEv18rocblas_operation_S7_T0_S8_S8_T1_T2_lS8_S8_lT3_lS8_S8_lS9_T4_lS8_S8_l,comdat
.Lfunc_end55:
	.size	_ZN9rocsolver6v33100L16mfma_gemm_kernelI19rocblas_complex_numIfElS3_PKPS3_S4_S4_EEv18rocblas_operation_S7_T0_S8_S8_T1_T2_lS8_S8_lT3_lS8_S8_lS9_T4_lS8_S8_l, .Lfunc_end55-_ZN9rocsolver6v33100L16mfma_gemm_kernelI19rocblas_complex_numIfElS3_PKPS3_S4_S4_EEv18rocblas_operation_S7_T0_S8_S8_T1_T2_lS8_S8_lT3_lS8_S8_lS9_T4_lS8_S8_l
                                        ; -- End function
	.section	.AMDGPU.csdata,"",@progbits
; Kernel info:
; codeLenInByte = 2712
; NumSgprs: 52
; NumVgprs: 51
; NumAgprs: 0
; TotalNumVgprs: 51
; ScratchSize: 0
; MemoryBound: 0
; FloatMode: 240
; IeeeMode: 1
; LDSByteSize: 20480 bytes/workgroup (compile time only)
; SGPRBlocks: 6
; VGPRBlocks: 6
; NumSGPRsForWavesPerEU: 52
; NumVGPRsForWavesPerEU: 51
; AccumOffset: 52
; Occupancy: 8
; WaveLimiterHint : 1
; COMPUTE_PGM_RSRC2:SCRATCH_EN: 0
; COMPUTE_PGM_RSRC2:USER_SGPR: 8
; COMPUTE_PGM_RSRC2:TRAP_HANDLER: 0
; COMPUTE_PGM_RSRC2:TGID_X_EN: 1
; COMPUTE_PGM_RSRC2:TGID_Y_EN: 1
; COMPUTE_PGM_RSRC2:TGID_Z_EN: 1
; COMPUTE_PGM_RSRC2:TIDIG_COMP_CNT: 2
; COMPUTE_PGM_RSRC3_GFX90A:ACCUM_OFFSET: 12
; COMPUTE_PGM_RSRC3_GFX90A:TG_SPLIT: 0
	.section	.text._ZN9rocsolver6v33100L11gemm_kernelI19rocblas_complex_numIfElPKS3_PKPS3_S6_S6_EEvT0_S9_S9_T1_bT2_lS9_S9_lbT3_lS9_S9_lSA_T4_lS9_S9_l,"axG",@progbits,_ZN9rocsolver6v33100L11gemm_kernelI19rocblas_complex_numIfElPKS3_PKPS3_S6_S6_EEvT0_S9_S9_T1_bT2_lS9_S9_lbT3_lS9_S9_lSA_T4_lS9_S9_l,comdat
	.globl	_ZN9rocsolver6v33100L11gemm_kernelI19rocblas_complex_numIfElPKS3_PKPS3_S6_S6_EEvT0_S9_S9_T1_bT2_lS9_S9_lbT3_lS9_S9_lSA_T4_lS9_S9_l ; -- Begin function _ZN9rocsolver6v33100L11gemm_kernelI19rocblas_complex_numIfElPKS3_PKPS3_S6_S6_EEvT0_S9_S9_T1_bT2_lS9_S9_lbT3_lS9_S9_lSA_T4_lS9_S9_l
	.p2align	8
	.type	_ZN9rocsolver6v33100L11gemm_kernelI19rocblas_complex_numIfElPKS3_PKPS3_S6_S6_EEvT0_S9_S9_T1_bT2_lS9_S9_lbT3_lS9_S9_lSA_T4_lS9_S9_l,@function
_ZN9rocsolver6v33100L11gemm_kernelI19rocblas_complex_numIfElPKS3_PKPS3_S6_S6_EEvT0_S9_S9_T1_bT2_lS9_S9_lbT3_lS9_S9_lSA_T4_lS9_S9_l: ; @_ZN9rocsolver6v33100L11gemm_kernelI19rocblas_complex_numIfElPKS3_PKPS3_S6_S6_EEvT0_S9_S9_T1_bT2_lS9_S9_lbT3_lS9_S9_lSA_T4_lS9_S9_l
; %bb.0:
	s_load_dword s0, s[4:5], 0xbc
	s_load_dwordx8 s[24:31], s[4:5], 0x0
	v_and_b32_e32 v4, 0x3ff, v0
	v_mov_b32_e32 v5, 0
	v_mov_b32_e32 v1, s6
	s_waitcnt lgkmcnt(0)
	s_lshr_b32 s2, s0, 16
	s_and_b32 s0, s0, 0xffff
	v_mad_u64_u32 v[2:3], s[0:1], s0, v1, v[4:5]
	v_bfe_u32 v4, v0, 10, 10
	v_mov_b32_e32 v0, s7
	v_mad_u64_u32 v[0:1], s[0:1], s2, v0, v[4:5]
	v_cmp_gt_i64_e32 vcc, s[24:25], v[2:3]
	v_cmp_gt_i64_e64 s[0:1], s[26:27], v[0:1]
	s_mov_b32 s9, 0
	s_and_b64 s[0:1], vcc, s[0:1]
	s_and_saveexec_b64 s[2:3], s[0:1]
	s_cbranch_execz .LBB56_9
; %bb.1:
	s_load_dwordx16 s[12:27], s[4:5], 0x58
	s_load_dwordx2 s[2:3], s[30:31], 0x0
	v_cmp_lt_i64_e64 s[6:7], s[28:29], 1
	s_and_b64 vcc, exec, s[6:7]
	v_mov_b32_e32 v4, 0
	s_waitcnt lgkmcnt(0)
	s_load_dwordx2 s[0:1], s[22:23], 0x0
	s_cbranch_vccnz .LBB56_8
; %bb.2:
	s_load_dwordx8 s[36:43], s[4:5], 0x28
	s_load_dword s10, s[4:5], 0x20
	s_load_dword s11, s[4:5], 0x50
	s_lshl_b64 s[6:7], s[8:9], 3
	v_mul_lo_u32 v8, s19, v0
	s_waitcnt lgkmcnt(0)
	s_add_u32 s6, s36, s6
	s_addc_u32 s7, s37, s7
	s_load_dwordx2 s[22:23], s[6:7], 0x0
	s_bitcmp1_b32 s10, 0
	s_cselect_b64 s[6:7], -1, 0
	s_xor_b64 s[6:7], s[6:7], -1
	s_bitcmp1_b32 s11, 0
	v_mad_u64_u32 v[4:5], s[30:31], s40, v2, 0
	s_cselect_b64 s[10:11], -1, 0
	v_mul_lo_u32 v6, s41, v2
	v_mul_lo_u32 v7, s40, v3
	s_lshl_b64 s[30:31], s[38:39], 3
	v_add3_u32 v5, v5, v7, v6
	s_waitcnt lgkmcnt(0)
	s_add_u32 s9, s22, s30
	v_lshlrev_b64 v[4:5], 3, v[4:5]
	s_addc_u32 s22, s23, s31
	v_mov_b32_e32 v6, s22
	v_add_co_u32_e32 v4, vcc, s9, v4
	v_addc_co_u32_e32 v5, vcc, v6, v5, vcc
	v_add_co_u32_e32 v6, vcc, 4, v4
	v_addc_co_u32_e32 v7, vcc, 0, v5, vcc
	v_mul_lo_u32 v9, s18, v1
	v_mad_u64_u32 v[4:5], s[18:19], s18, v0, 0
	s_mul_i32 s9, s21, s8
	s_mul_hi_u32 s18, s20, s8
	s_add_i32 s19, s18, s9
	s_mul_i32 s18, s20, s8
	s_lshl_b64 s[22:23], s[42:43], 3
	s_lshl_b64 s[18:19], s[18:19], 3
	;; [unrolled: 1-line block ×3, first 2 shown]
	s_add_u32 s9, s12, s14
	s_addc_u32 s12, s13, s15
	v_add3_u32 v5, v5, v9, v8
	s_add_u32 s9, s9, s18
	v_lshlrev_b64 v[4:5], 3, v[4:5]
	s_addc_u32 s12, s12, s19
	v_mov_b32_e32 v8, s12
	v_add_co_u32_e32 v4, vcc, s9, v4
	v_addc_co_u32_e32 v5, vcc, v8, v5, vcc
	v_add_co_u32_e32 v8, vcc, 4, v4
	s_lshl_b64 s[12:13], s[16:17], 3
	v_addc_co_u32_e32 v9, vcc, 0, v5, vcc
	v_mov_b32_e32 v5, 0
	v_mov_b32_e32 v12, s23
	;; [unrolled: 1-line block ×4, first 2 shown]
	s_branch .LBB56_4
.LBB56_3:                               ;   in Loop: Header=BB56_4 Depth=1
	global_load_dwordx2 v[14:15], v[8:9], off offset:-4
	v_add_co_u32_e32 v6, vcc, s22, v6
	s_add_u32 s28, s28, -1
	v_addc_co_u32_e32 v7, vcc, v7, v12, vcc
	s_addc_u32 s29, s29, -1
	v_add_co_u32_e32 v8, vcc, s12, v8
	s_cmp_eq_u64 s[28:29], 0
	v_addc_co_u32_e32 v9, vcc, v9, v13, vcc
	s_waitcnt vmcnt(0)
	v_cndmask_b32_e64 v15, v15, -v15, s[10:11]
	v_mul_f32_e32 v16, v14, v11
	v_mul_f32_e32 v11, v15, v11
	v_fmac_f32_e32 v16, v15, v10
	v_fma_f32 v10, v14, v10, -v11
	v_add_f32_e32 v5, v5, v16
	v_add_f32_e32 v4, v4, v10
	s_cbranch_scc1 .LBB56_8
.LBB56_4:                               ; =>This Inner Loop Header: Depth=1
	s_and_b64 vcc, exec, s[6:7]
	s_cbranch_vccz .LBB56_6
; %bb.5:                                ;   in Loop: Header=BB56_4 Depth=1
	global_load_dwordx2 v[10:11], v[6:7], off offset:-4
	s_cbranch_execnz .LBB56_3
	s_branch .LBB56_7
.LBB56_6:                               ;   in Loop: Header=BB56_4 Depth=1
                                        ; implicit-def: $vgpr11
.LBB56_7:                               ;   in Loop: Header=BB56_4 Depth=1
	global_load_dwordx2 v[10:11], v[6:7], off offset:-4
	s_waitcnt vmcnt(0)
	v_xor_b32_e32 v11, 0x80000000, v11
	s_branch .LBB56_3
.LBB56_8:
	s_load_dwordx2 s[6:7], s[4:5], 0xa8
	s_load_dwordx4 s[12:15], s[4:5], 0x98
	s_waitcnt lgkmcnt(0)
	s_mul_i32 s5, s8, s7
	s_mul_hi_u32 s7, s8, s6
	s_mul_i32 s4, s8, s6
	s_add_i32 s5, s7, s5
	s_lshl_b64 s[4:5], s[4:5], 3
	s_add_u32 s6, s24, s4
	s_addc_u32 s7, s25, s5
	s_lshl_b64 s[4:5], s[26:27], 3
	s_add_u32 s6, s6, s4
	s_addc_u32 s7, s7, s5
	v_mul_lo_u32 v6, v3, s12
	v_mul_lo_u32 v7, v2, s13
	v_mad_u64_u32 v[2:3], s[4:5], v2, s12, 0
	v_add3_u32 v3, v3, v7, v6
	v_mul_lo_u32 v6, v1, s14
	v_mul_lo_u32 v7, v0, s15
	v_mad_u64_u32 v[0:1], s[4:5], v0, s14, 0
	v_lshlrev_b64 v[2:3], 3, v[2:3]
	v_add3_u32 v1, v1, v7, v6
	v_mov_b32_e32 v6, s7
	v_add_co_u32_e32 v2, vcc, s6, v2
	v_addc_co_u32_e32 v3, vcc, v6, v3, vcc
	v_lshlrev_b64 v[0:1], 3, v[0:1]
	v_add_co_u32_e32 v0, vcc, v2, v0
	v_addc_co_u32_e32 v1, vcc, v3, v1, vcc
	global_load_dwordx2 v[2:3], v[0:1], off
	v_mul_f32_e32 v6, s3, v5
	v_mul_f32_e32 v5, s2, v5
	v_fma_f32 v6, s2, v4, -v6
	v_fmac_f32_e32 v5, s3, v4
	s_waitcnt vmcnt(0)
	v_mul_f32_e32 v4, s1, v3
	v_mul_f32_e32 v3, s0, v3
	v_fma_f32 v4, s0, v2, -v4
	v_fmac_f32_e32 v3, s1, v2
	v_add_f32_e32 v2, v6, v4
	v_add_f32_e32 v3, v5, v3
	global_store_dwordx2 v[0:1], v[2:3], off
.LBB56_9:
	s_endpgm
	.section	.rodata,"a",@progbits
	.p2align	6, 0x0
	.amdhsa_kernel _ZN9rocsolver6v33100L11gemm_kernelI19rocblas_complex_numIfElPKS3_PKPS3_S6_S6_EEvT0_S9_S9_T1_bT2_lS9_S9_lbT3_lS9_S9_lSA_T4_lS9_S9_l
		.amdhsa_group_segment_fixed_size 0
		.amdhsa_private_segment_fixed_size 0
		.amdhsa_kernarg_size 432
		.amdhsa_user_sgpr_count 6
		.amdhsa_user_sgpr_private_segment_buffer 1
		.amdhsa_user_sgpr_dispatch_ptr 0
		.amdhsa_user_sgpr_queue_ptr 0
		.amdhsa_user_sgpr_kernarg_segment_ptr 1
		.amdhsa_user_sgpr_dispatch_id 0
		.amdhsa_user_sgpr_flat_scratch_init 0
		.amdhsa_user_sgpr_kernarg_preload_length 0
		.amdhsa_user_sgpr_kernarg_preload_offset 0
		.amdhsa_user_sgpr_private_segment_size 0
		.amdhsa_uses_dynamic_stack 0
		.amdhsa_system_sgpr_private_segment_wavefront_offset 0
		.amdhsa_system_sgpr_workgroup_id_x 1
		.amdhsa_system_sgpr_workgroup_id_y 1
		.amdhsa_system_sgpr_workgroup_id_z 1
		.amdhsa_system_sgpr_workgroup_info 0
		.amdhsa_system_vgpr_workitem_id 1
		.amdhsa_next_free_vgpr 17
		.amdhsa_next_free_sgpr 44
		.amdhsa_accum_offset 20
		.amdhsa_reserve_vcc 1
		.amdhsa_reserve_flat_scratch 0
		.amdhsa_float_round_mode_32 0
		.amdhsa_float_round_mode_16_64 0
		.amdhsa_float_denorm_mode_32 3
		.amdhsa_float_denorm_mode_16_64 3
		.amdhsa_dx10_clamp 1
		.amdhsa_ieee_mode 1
		.amdhsa_fp16_overflow 0
		.amdhsa_tg_split 0
		.amdhsa_exception_fp_ieee_invalid_op 0
		.amdhsa_exception_fp_denorm_src 0
		.amdhsa_exception_fp_ieee_div_zero 0
		.amdhsa_exception_fp_ieee_overflow 0
		.amdhsa_exception_fp_ieee_underflow 0
		.amdhsa_exception_fp_ieee_inexact 0
		.amdhsa_exception_int_div_zero 0
	.end_amdhsa_kernel
	.section	.text._ZN9rocsolver6v33100L11gemm_kernelI19rocblas_complex_numIfElPKS3_PKPS3_S6_S6_EEvT0_S9_S9_T1_bT2_lS9_S9_lbT3_lS9_S9_lSA_T4_lS9_S9_l,"axG",@progbits,_ZN9rocsolver6v33100L11gemm_kernelI19rocblas_complex_numIfElPKS3_PKPS3_S6_S6_EEvT0_S9_S9_T1_bT2_lS9_S9_lbT3_lS9_S9_lSA_T4_lS9_S9_l,comdat
.Lfunc_end56:
	.size	_ZN9rocsolver6v33100L11gemm_kernelI19rocblas_complex_numIfElPKS3_PKPS3_S6_S6_EEvT0_S9_S9_T1_bT2_lS9_S9_lbT3_lS9_S9_lSA_T4_lS9_S9_l, .Lfunc_end56-_ZN9rocsolver6v33100L11gemm_kernelI19rocblas_complex_numIfElPKS3_PKPS3_S6_S6_EEvT0_S9_S9_T1_bT2_lS9_S9_lbT3_lS9_S9_lSA_T4_lS9_S9_l
                                        ; -- End function
	.section	.AMDGPU.csdata,"",@progbits
; Kernel info:
; codeLenInByte = 784
; NumSgprs: 48
; NumVgprs: 17
; NumAgprs: 0
; TotalNumVgprs: 17
; ScratchSize: 0
; MemoryBound: 0
; FloatMode: 240
; IeeeMode: 1
; LDSByteSize: 0 bytes/workgroup (compile time only)
; SGPRBlocks: 5
; VGPRBlocks: 2
; NumSGPRsForWavesPerEU: 48
; NumVGPRsForWavesPerEU: 17
; AccumOffset: 20
; Occupancy: 8
; WaveLimiterHint : 0
; COMPUTE_PGM_RSRC2:SCRATCH_EN: 0
; COMPUTE_PGM_RSRC2:USER_SGPR: 6
; COMPUTE_PGM_RSRC2:TRAP_HANDLER: 0
; COMPUTE_PGM_RSRC2:TGID_X_EN: 1
; COMPUTE_PGM_RSRC2:TGID_Y_EN: 1
; COMPUTE_PGM_RSRC2:TGID_Z_EN: 1
; COMPUTE_PGM_RSRC2:TIDIG_COMP_CNT: 1
; COMPUTE_PGM_RSRC3_GFX90A:ACCUM_OFFSET: 4
; COMPUTE_PGM_RSRC3_GFX90A:TG_SPLIT: 0
	.section	.text._ZN9rocsolver6v33100L11gemm_kernelI19rocblas_complex_numIfElS3_PKPS3_S4_S4_EEvT0_S7_S7_T1_bT2_lS7_S7_lbT3_lS7_S7_lS8_T4_lS7_S7_l,"axG",@progbits,_ZN9rocsolver6v33100L11gemm_kernelI19rocblas_complex_numIfElS3_PKPS3_S4_S4_EEvT0_S7_S7_T1_bT2_lS7_S7_lbT3_lS7_S7_lS8_T4_lS7_S7_l,comdat
	.globl	_ZN9rocsolver6v33100L11gemm_kernelI19rocblas_complex_numIfElS3_PKPS3_S4_S4_EEvT0_S7_S7_T1_bT2_lS7_S7_lbT3_lS7_S7_lS8_T4_lS7_S7_l ; -- Begin function _ZN9rocsolver6v33100L11gemm_kernelI19rocblas_complex_numIfElS3_PKPS3_S4_S4_EEvT0_S7_S7_T1_bT2_lS7_S7_lbT3_lS7_S7_lS8_T4_lS7_S7_l
	.p2align	8
	.type	_ZN9rocsolver6v33100L11gemm_kernelI19rocblas_complex_numIfElS3_PKPS3_S4_S4_EEvT0_S7_S7_T1_bT2_lS7_S7_lbT3_lS7_S7_lS8_T4_lS7_S7_l,@function
_ZN9rocsolver6v33100L11gemm_kernelI19rocblas_complex_numIfElS3_PKPS3_S4_S4_EEvT0_S7_S7_T1_bT2_lS7_S7_lbT3_lS7_S7_lS8_T4_lS7_S7_l: ; @_ZN9rocsolver6v33100L11gemm_kernelI19rocblas_complex_numIfElS3_PKPS3_S4_S4_EEvT0_S7_S7_T1_bT2_lS7_S7_lbT3_lS7_S7_lS8_T4_lS7_S7_l
; %bb.0:
	s_load_dword s10, s[4:5], 0xbc
	s_load_dwordx4 s[0:3], s[4:5], 0x0
	v_and_b32_e32 v4, 0x3ff, v0
	v_mov_b32_e32 v5, 0
	v_mov_b32_e32 v1, s6
	s_waitcnt lgkmcnt(0)
	s_lshr_b32 s12, s10, 16
	s_and_b32 s10, s10, 0xffff
	v_mad_u64_u32 v[2:3], s[10:11], s10, v1, v[4:5]
	v_bfe_u32 v4, v0, 10, 10
	v_mov_b32_e32 v0, s7
	v_mad_u64_u32 v[0:1], s[6:7], s12, v0, v[4:5]
	v_cmp_gt_i64_e32 vcc, s[0:1], v[2:3]
	v_cmp_gt_i64_e64 s[0:1], s[2:3], v[0:1]
	s_mov_b32 s9, 0
	s_and_b64 s[0:1], vcc, s[0:1]
	s_and_saveexec_b64 s[2:3], s[0:1]
	s_cbranch_execz .LBB57_9
; %bb.1:
	s_load_dwordx2 s[10:11], s[4:5], 0x10
	s_load_dwordx4 s[0:3], s[4:5], 0x18
	s_load_dwordx2 s[6:7], s[4:5], 0x80
	v_mov_b32_e32 v4, 0
	s_waitcnt lgkmcnt(0)
	v_cmp_lt_i64_e64 s[12:13], s[10:11], 1
	s_and_b64 vcc, exec, s[12:13]
	s_cbranch_vccnz .LBB57_8
; %bb.2:
	s_load_dwordx8 s[20:27], s[4:5], 0x28
	s_load_dword s30, s[4:5], 0x50
	s_load_dwordx8 s[12:19], s[4:5], 0x58
	s_lshl_b64 s[28:29], s[8:9], 3
	s_waitcnt lgkmcnt(0)
	s_add_u32 s20, s20, s28
	s_addc_u32 s21, s21, s29
	s_load_dwordx2 s[28:29], s[20:21], 0x0
	s_bitcmp1_b32 s2, 0
	s_cselect_b64 s[2:3], -1, 0
	s_xor_b64 s[2:3], s[2:3], -1
	s_bitcmp1_b32 s30, 0
	s_cselect_b64 s[20:21], -1, 0
	v_mul_lo_u32 v6, s25, v2
	v_mul_lo_u32 v7, s24, v3
	v_mad_u64_u32 v[4:5], s[24:25], s24, v2, 0
	s_lshl_b64 s[22:23], s[22:23], 3
	v_add3_u32 v5, v5, v7, v6
	s_waitcnt lgkmcnt(0)
	s_add_u32 s9, s28, s22
	s_load_dwordx2 s[30:31], s[4:5], 0x78
	v_lshlrev_b64 v[4:5], 3, v[4:5]
	s_addc_u32 s22, s29, s23
	v_mov_b32_e32 v6, s22
	v_add_co_u32_e32 v4, vcc, s9, v4
	v_addc_co_u32_e32 v5, vcc, v6, v5, vcc
	v_add_co_u32_e32 v6, vcc, 4, v4
	v_addc_co_u32_e32 v7, vcc, 0, v5, vcc
	v_mul_lo_u32 v8, s19, v0
	v_mul_lo_u32 v9, s18, v1
	v_mad_u64_u32 v[4:5], s[18:19], s18, v0, 0
	s_waitcnt lgkmcnt(0)
	s_mul_i32 s9, s31, s8
	s_mul_hi_u32 s18, s30, s8
	s_add_i32 s19, s18, s9
	s_mul_i32 s18, s30, s8
	s_lshl_b64 s[22:23], s[26:27], 3
	s_lshl_b64 s[18:19], s[18:19], 3
	;; [unrolled: 1-line block ×3, first 2 shown]
	s_add_u32 s9, s12, s14
	s_addc_u32 s12, s13, s15
	v_add3_u32 v5, v5, v9, v8
	s_add_u32 s9, s9, s18
	v_lshlrev_b64 v[4:5], 3, v[4:5]
	s_addc_u32 s12, s12, s19
	v_mov_b32_e32 v8, s12
	v_add_co_u32_e32 v4, vcc, s9, v4
	v_addc_co_u32_e32 v5, vcc, v8, v5, vcc
	v_add_co_u32_e32 v8, vcc, 4, v4
	s_lshl_b64 s[12:13], s[16:17], 3
	v_addc_co_u32_e32 v9, vcc, 0, v5, vcc
	v_mov_b32_e32 v5, 0
	v_mov_b32_e32 v12, s23
	v_mov_b32_e32 v13, s13
	v_mov_b32_e32 v4, 0
	s_branch .LBB57_4
.LBB57_3:                               ;   in Loop: Header=BB57_4 Depth=1
	global_load_dwordx2 v[14:15], v[8:9], off offset:-4
	v_add_co_u32_e32 v6, vcc, s22, v6
	s_add_u32 s10, s10, -1
	v_addc_co_u32_e32 v7, vcc, v7, v12, vcc
	s_addc_u32 s11, s11, -1
	v_add_co_u32_e32 v8, vcc, s12, v8
	s_cmp_eq_u64 s[10:11], 0
	v_addc_co_u32_e32 v9, vcc, v9, v13, vcc
	s_waitcnt vmcnt(0)
	v_cndmask_b32_e64 v15, v15, -v15, s[20:21]
	v_mul_f32_e32 v16, v14, v11
	v_mul_f32_e32 v11, v15, v11
	v_fmac_f32_e32 v16, v15, v10
	v_fma_f32 v10, v14, v10, -v11
	v_add_f32_e32 v5, v5, v16
	v_add_f32_e32 v4, v4, v10
	s_cbranch_scc1 .LBB57_8
.LBB57_4:                               ; =>This Inner Loop Header: Depth=1
	s_and_b64 vcc, exec, s[2:3]
	s_cbranch_vccz .LBB57_6
; %bb.5:                                ;   in Loop: Header=BB57_4 Depth=1
	global_load_dwordx2 v[10:11], v[6:7], off offset:-4
	s_cbranch_execnz .LBB57_3
	s_branch .LBB57_7
.LBB57_6:                               ;   in Loop: Header=BB57_4 Depth=1
                                        ; implicit-def: $vgpr11
.LBB57_7:                               ;   in Loop: Header=BB57_4 Depth=1
	global_load_dwordx2 v[10:11], v[6:7], off offset:-4
	s_waitcnt vmcnt(0)
	v_xor_b32_e32 v11, 0x80000000, v11
	s_branch .LBB57_3
.LBB57_8:
	s_load_dwordx2 s[2:3], s[4:5], 0xa8
	s_load_dwordx8 s[12:19], s[4:5], 0x88
	s_waitcnt lgkmcnt(0)
	s_mul_i32 s3, s8, s3
	s_mul_hi_u32 s4, s8, s2
	s_mul_i32 s2, s8, s2
	s_add_i32 s3, s4, s3
	s_lshl_b64 s[2:3], s[2:3], 3
	s_add_u32 s4, s12, s2
	s_addc_u32 s5, s13, s3
	s_lshl_b64 s[2:3], s[14:15], 3
	s_add_u32 s4, s4, s2
	s_addc_u32 s5, s5, s3
	v_mul_lo_u32 v6, v3, s16
	v_mul_lo_u32 v7, v2, s17
	v_mad_u64_u32 v[2:3], s[2:3], v2, s16, 0
	v_add3_u32 v3, v3, v7, v6
	v_mul_lo_u32 v6, v1, s18
	v_mul_lo_u32 v7, v0, s19
	v_mad_u64_u32 v[0:1], s[2:3], v0, s18, 0
	v_lshlrev_b64 v[2:3], 3, v[2:3]
	v_add3_u32 v1, v1, v7, v6
	v_mov_b32_e32 v6, s5
	v_add_co_u32_e32 v2, vcc, s4, v2
	v_addc_co_u32_e32 v3, vcc, v6, v3, vcc
	v_lshlrev_b64 v[0:1], 3, v[0:1]
	v_add_co_u32_e32 v0, vcc, v2, v0
	v_addc_co_u32_e32 v1, vcc, v3, v1, vcc
	global_load_dwordx2 v[2:3], v[0:1], off
	v_mul_f32_e32 v6, s1, v5
	v_mul_f32_e32 v5, s0, v5
	v_fma_f32 v6, s0, v4, -v6
	v_fmac_f32_e32 v5, s1, v4
	s_waitcnt vmcnt(0)
	v_mul_f32_e32 v4, s7, v3
	v_mul_f32_e32 v3, s6, v3
	v_fma_f32 v4, s6, v2, -v4
	v_fmac_f32_e32 v3, s7, v2
	v_add_f32_e32 v2, v6, v4
	v_add_f32_e32 v3, v5, v3
	global_store_dwordx2 v[0:1], v[2:3], off
.LBB57_9:
	s_endpgm
	.section	.rodata,"a",@progbits
	.p2align	6, 0x0
	.amdhsa_kernel _ZN9rocsolver6v33100L11gemm_kernelI19rocblas_complex_numIfElS3_PKPS3_S4_S4_EEvT0_S7_S7_T1_bT2_lS7_S7_lbT3_lS7_S7_lS8_T4_lS7_S7_l
		.amdhsa_group_segment_fixed_size 0
		.amdhsa_private_segment_fixed_size 0
		.amdhsa_kernarg_size 432
		.amdhsa_user_sgpr_count 6
		.amdhsa_user_sgpr_private_segment_buffer 1
		.amdhsa_user_sgpr_dispatch_ptr 0
		.amdhsa_user_sgpr_queue_ptr 0
		.amdhsa_user_sgpr_kernarg_segment_ptr 1
		.amdhsa_user_sgpr_dispatch_id 0
		.amdhsa_user_sgpr_flat_scratch_init 0
		.amdhsa_user_sgpr_kernarg_preload_length 0
		.amdhsa_user_sgpr_kernarg_preload_offset 0
		.amdhsa_user_sgpr_private_segment_size 0
		.amdhsa_uses_dynamic_stack 0
		.amdhsa_system_sgpr_private_segment_wavefront_offset 0
		.amdhsa_system_sgpr_workgroup_id_x 1
		.amdhsa_system_sgpr_workgroup_id_y 1
		.amdhsa_system_sgpr_workgroup_id_z 1
		.amdhsa_system_sgpr_workgroup_info 0
		.amdhsa_system_vgpr_workitem_id 1
		.amdhsa_next_free_vgpr 17
		.amdhsa_next_free_sgpr 32
		.amdhsa_accum_offset 20
		.amdhsa_reserve_vcc 1
		.amdhsa_reserve_flat_scratch 0
		.amdhsa_float_round_mode_32 0
		.amdhsa_float_round_mode_16_64 0
		.amdhsa_float_denorm_mode_32 3
		.amdhsa_float_denorm_mode_16_64 3
		.amdhsa_dx10_clamp 1
		.amdhsa_ieee_mode 1
		.amdhsa_fp16_overflow 0
		.amdhsa_tg_split 0
		.amdhsa_exception_fp_ieee_invalid_op 0
		.amdhsa_exception_fp_denorm_src 0
		.amdhsa_exception_fp_ieee_div_zero 0
		.amdhsa_exception_fp_ieee_overflow 0
		.amdhsa_exception_fp_ieee_underflow 0
		.amdhsa_exception_fp_ieee_inexact 0
		.amdhsa_exception_int_div_zero 0
	.end_amdhsa_kernel
	.section	.text._ZN9rocsolver6v33100L11gemm_kernelI19rocblas_complex_numIfElS3_PKPS3_S4_S4_EEvT0_S7_S7_T1_bT2_lS7_S7_lbT3_lS7_S7_lS8_T4_lS7_S7_l,"axG",@progbits,_ZN9rocsolver6v33100L11gemm_kernelI19rocblas_complex_numIfElS3_PKPS3_S4_S4_EEvT0_S7_S7_T1_bT2_lS7_S7_lbT3_lS7_S7_lS8_T4_lS7_S7_l,comdat
.Lfunc_end57:
	.size	_ZN9rocsolver6v33100L11gemm_kernelI19rocblas_complex_numIfElS3_PKPS3_S4_S4_EEvT0_S7_S7_T1_bT2_lS7_S7_lbT3_lS7_S7_lS8_T4_lS7_S7_l, .Lfunc_end57-_ZN9rocsolver6v33100L11gemm_kernelI19rocblas_complex_numIfElS3_PKPS3_S4_S4_EEvT0_S7_S7_T1_bT2_lS7_S7_lbT3_lS7_S7_lS8_T4_lS7_S7_l
                                        ; -- End function
	.section	.AMDGPU.csdata,"",@progbits
; Kernel info:
; codeLenInByte = 796
; NumSgprs: 36
; NumVgprs: 17
; NumAgprs: 0
; TotalNumVgprs: 17
; ScratchSize: 0
; MemoryBound: 0
; FloatMode: 240
; IeeeMode: 1
; LDSByteSize: 0 bytes/workgroup (compile time only)
; SGPRBlocks: 4
; VGPRBlocks: 2
; NumSGPRsForWavesPerEU: 36
; NumVGPRsForWavesPerEU: 17
; AccumOffset: 20
; Occupancy: 8
; WaveLimiterHint : 1
; COMPUTE_PGM_RSRC2:SCRATCH_EN: 0
; COMPUTE_PGM_RSRC2:USER_SGPR: 6
; COMPUTE_PGM_RSRC2:TRAP_HANDLER: 0
; COMPUTE_PGM_RSRC2:TGID_X_EN: 1
; COMPUTE_PGM_RSRC2:TGID_Y_EN: 1
; COMPUTE_PGM_RSRC2:TGID_Z_EN: 1
; COMPUTE_PGM_RSRC2:TIDIG_COMP_CNT: 1
; COMPUTE_PGM_RSRC3_GFX90A:ACCUM_OFFSET: 4
; COMPUTE_PGM_RSRC3_GFX90A:TG_SPLIT: 0
	.section	.text._ZN9rocsolver6v33100L16mfma_gemm_kernelI19rocblas_complex_numIfElPKS3_PS3_PKS6_S6_EEv18rocblas_operation_S9_T0_SA_SA_T1_T2_lSA_SA_lT3_lSA_SA_lSB_T4_lSA_SA_l,"axG",@progbits,_ZN9rocsolver6v33100L16mfma_gemm_kernelI19rocblas_complex_numIfElPKS3_PS3_PKS6_S6_EEv18rocblas_operation_S9_T0_SA_SA_T1_T2_lSA_SA_lT3_lSA_SA_lSB_T4_lSA_SA_l,comdat
	.globl	_ZN9rocsolver6v33100L16mfma_gemm_kernelI19rocblas_complex_numIfElPKS3_PS3_PKS6_S6_EEv18rocblas_operation_S9_T0_SA_SA_T1_T2_lSA_SA_lT3_lSA_SA_lSB_T4_lSA_SA_l ; -- Begin function _ZN9rocsolver6v33100L16mfma_gemm_kernelI19rocblas_complex_numIfElPKS3_PS3_PKS6_S6_EEv18rocblas_operation_S9_T0_SA_SA_T1_T2_lSA_SA_lT3_lSA_SA_lSB_T4_lSA_SA_l
	.p2align	8
	.type	_ZN9rocsolver6v33100L16mfma_gemm_kernelI19rocblas_complex_numIfElPKS3_PS3_PKS6_S6_EEv18rocblas_operation_S9_T0_SA_SA_T1_T2_lSA_SA_lT3_lSA_SA_lSB_T4_lSA_SA_l,@function
_ZN9rocsolver6v33100L16mfma_gemm_kernelI19rocblas_complex_numIfElPKS3_PS3_PKS6_S6_EEv18rocblas_operation_S9_T0_SA_SA_T1_T2_lSA_SA_lT3_lSA_SA_lSB_T4_lSA_SA_l: ; @_ZN9rocsolver6v33100L16mfma_gemm_kernelI19rocblas_complex_numIfElPKS3_PS3_PKS6_S6_EEv18rocblas_operation_S9_T0_SA_SA_T1_T2_lSA_SA_lT3_lSA_SA_lSB_T4_lSA_SA_l
; %bb.0:
	s_load_dword s0, s[6:7], 0xb4
	s_load_dwordx16 s[12:27], s[6:7], 0x8
	v_and_b32_e32 v1, 0x3ff, v0
	v_lshrrev_b32_e32 v2, 6, v1
	v_mov_b32_e32 v3, 0
	s_waitcnt lgkmcnt(0)
	s_lshr_b32 s2, s0, 16
	s_bfe_u32 s0, s0, 0xa0006
	v_mov_b32_e32 v4, s8
	v_bfe_u32 v8, v0, 10, 10
	v_mov_b32_e32 v9, v3
	v_mad_u64_u32 v[16:17], s[0:1], s0, v4, v[2:3]
	v_mov_b32_e32 v2, s9
	v_mad_u64_u32 v[20:21], s[0:1], s2, v2, v[8:9]
	v_lshlrev_b64 v[4:5], 4, v[16:17]
	v_lshlrev_b64 v[6:7], 4, v[20:21]
	v_cmp_gt_i64_e32 vcc, s[12:13], v[4:5]
	v_cmp_gt_i64_e64 s[0:1], s[14:15], v[6:7]
	s_mov_b32 s11, 0
	s_and_b64 s[0:1], vcc, s[0:1]
	s_and_saveexec_b64 s[2:3], s[0:1]
	s_cbranch_execz .LBB58_37
; %bb.1:
	s_load_dwordx2 s[0:1], s[4:5], 0x4
	s_load_dwordx8 s[36:43], s[6:7], 0x78
	s_load_dwordx4 s[28:31], s[6:7], 0x98
	v_bfe_u32 v0, v0, 20, 10
	v_bfe_u32 v10, v1, 2, 4
	s_waitcnt lgkmcnt(0)
	s_lshr_b32 s0, s0, 16
	s_mul_i32 s0, s0, s1
	v_mul_u32_u24_e32 v2, s1, v8
	v_mul_lo_u32 v8, s0, v1
	v_add3_u32 v0, v8, v2, v0
	v_add_co_u32_e32 v8, vcc, 16, v4
	v_addc_co_u32_e32 v9, vcc, 0, v5, vcc
	s_and_b32 s0, s12, 15
	v_mul_lo_u32 v30, v0, 20
	v_mov_b32_e32 v0, s0
	v_cmp_lt_u64_e32 vcc, s[12:13], v[8:9]
	v_cndmask_b32_e32 v2, 16, v0, vcc
	v_add_co_u32_e32 v8, vcc, 16, v6
	s_load_dwordx2 s[12:13], s[18:19], 0x0
	s_load_dwordx2 s[8:9], s[36:37], 0x0
	v_addc_co_u32_e32 v9, vcc, 0, v7, vcc
	s_and_b32 s0, s14, 15
	v_mov_b32_e32 v0, s0
	v_cmp_lt_u64_e32 vcc, s[14:15], v[8:9]
	v_cndmask_b32_e32 v8, 16, v0, vcc
	v_mov_b32_e32 v9, v3
	v_mov_b32_e32 v11, v3
	v_cmp_lt_i64_e64 s[0:1], s[16:17], 1
	v_and_b32_e32 v15, 63, v1
	v_and_b32_e32 v28, 3, v1
	s_and_b64 vcc, exec, s[0:1]
	v_cmp_lt_u64_e64 s[0:1], v[10:11], v[8:9]
	v_mbcnt_lo_u32_b32 v29, -1, 0
	v_mov_b32_e32 v13, v3
	v_mov_b32_e32 v0, v3
	;; [unrolled: 1-line block ×8, first 2 shown]
	ds_write2_b32 v30, v3, v3 offset0:2 offset1:3
	ds_write2_b32 v30, v3, v3 offset1:1
	ds_write_b32 v30, v3 offset:16
	s_cbranch_vccnz .LBB58_29
; %bb.2:
	s_load_dwordx8 s[44:51], s[6:7], 0x48
	s_load_dwordx2 s[36:37], s[6:7], 0x0
	s_load_dwordx2 s[52:53], s[6:7], 0x68
	s_lshl_b64 s[2:3], s[10:11], 3
	v_lshrrev_b32_e32 v14, 4, v15
	s_waitcnt lgkmcnt(0)
	s_add_u32 s2, s46, s2
	s_addc_u32 s3, s47, s3
	s_cmpk_lg_i32 s36, 0x6f
	s_cselect_b64 s[14:15], -1, 0
	s_cmpk_lg_i32 s37, 0x6f
	s_cselect_b64 s[18:19], -1, 0
	s_cmpk_eq_i32 s37, 0x6f
	s_cselect_b32 s11, s52, s50
	s_cselect_b32 s33, s53, s51
	s_cmpk_eq_i32 s36, 0x6f
	s_cselect_b32 s54, s24, s26
	s_cselect_b32 s55, s25, s27
	v_mul_lo_u32 v18, s55, v16
	v_mul_lo_u32 v17, s54, v17
	v_mad_u64_u32 v[12:13], s[54:55], s54, v16, 0
	v_add3_u32 v13, v13, v17, v18
	v_mad_u64_u32 v[16:17], s[54:55], s26, v14, 0
	v_mov_b32_e32 v18, v17
	v_mad_u64_u32 v[18:19], s[54:55], s27, v14, v[18:19]
	s_cmpk_eq_i32 s36, 0x71
	v_mov_b32_e32 v17, v18
	s_cselect_b64 s[34:35], -1, 0
	s_cmpk_eq_i32 s37, 0x71
	v_lshlrev_b64 v[12:13], 7, v[12:13]
	v_lshlrev_b64 v[16:17], 3, v[16:17]
	s_mul_i32 s45, s45, s10
	s_mul_hi_u32 s54, s44, s10
	s_cselect_b64 s[36:37], -1, 0
	v_add_co_u32_e32 v16, vcc, v12, v16
	s_add_i32 s45, s54, s45
	s_mul_i32 s44, s44, s10
	v_addc_co_u32_e32 v17, vcc, v13, v17, vcc
	s_lshl_b64 s[44:45], s[44:45], 3
	v_and_b32_e32 v0, 15, v15
	v_mov_b32_e32 v24, s45
	v_add_co_u32_e32 v22, vcc, s44, v16
	v_addc_co_u32_e32 v23, vcc, v17, v24, vcc
	v_mad_u64_u32 v[16:17], s[54:55], s24, v0, 0
	v_mov_b32_e32 v18, v17
	v_mad_u64_u32 v[18:19], s[54:55], s25, v0, v[18:19]
	v_mov_b32_e32 v17, v18
	v_lshlrev_b64 v[16:17], 3, v[16:17]
	s_lshl_b64 s[22:23], s[22:23], 3
	v_add_co_u32_e32 v16, vcc, v22, v16
	s_add_u32 s45, s20, s22
	v_addc_co_u32_e32 v17, vcc, v23, v17, vcc
	s_addc_u32 s54, s21, s23
	v_mov_b32_e32 v18, s54
	v_add_co_u32_e32 v16, vcc, s45, v16
	v_addc_co_u32_e32 v17, vcc, v18, v17, vcc
	v_mad_u64_u32 v[18:19], s[22:23], s26, v10, 0
	v_mov_b32_e32 v22, v19
	v_mad_u64_u32 v[22:23], s[22:23], s27, v10, v[22:23]
	v_mov_b32_e32 v19, v22
	v_lshlrev_b64 v[18:19], 3, v[18:19]
	v_add_co_u32_e32 v12, vcc, v12, v18
	v_addc_co_u32_e32 v13, vcc, v13, v19, vcc
	v_add_co_u32_e32 v22, vcc, s44, v12
	v_addc_co_u32_e32 v23, vcc, v13, v24, vcc
	v_mad_u64_u32 v[12:13], s[22:23], s24, v28, 0
	v_mov_b32_e32 v18, v13
	v_mad_u64_u32 v[18:19], s[22:23], s25, v28, v[18:19]
	v_mov_b32_e32 v13, v18
	v_lshlrev_b64 v[12:13], 3, v[12:13]
	v_add_co_u32_e32 v12, vcc, v22, v12
	v_addc_co_u32_e32 v13, vcc, v23, v13, vcc
	v_mov_b32_e32 v19, s54
	v_add_co_u32_e32 v18, vcc, s45, v12
	v_addc_co_u32_e32 v19, vcc, v19, v13, vcc
	s_lshl_b64 s[22:23], s[24:25], 5
	v_mul_lo_u32 v22, s33, v20
	v_mul_lo_u32 v21, s11, v21
	v_mad_u64_u32 v[12:13], s[24:25], s11, v20, 0
	v_add3_u32 v13, v13, v21, v22
	v_mad_u64_u32 v[20:21], s[24:25], s52, v10, 0
	v_mov_b32_e32 v22, v21
	v_mad_u64_u32 v[22:23], s[24:25], s53, v10, v[22:23]
	v_mov_b32_e32 v21, v22
	v_lshlrev_b64 v[12:13], 7, v[12:13]
	v_lshlrev_b64 v[20:21], 3, v[20:21]
	v_add_co_u32_e32 v24, vcc, v12, v20
	s_load_dwordx2 s[46:47], s[2:3], 0x0
	v_addc_co_u32_e32 v25, vcc, v13, v21, vcc
	v_mad_u64_u32 v[20:21], s[24:25], s50, v28, 0
	v_mov_b32_e32 v22, v21
	v_mad_u64_u32 v[22:23], s[24:25], s51, v28, v[22:23]
	v_mov_b32_e32 v21, v22
	s_lshl_b64 s[20:21], s[26:27], 5
	v_lshlrev_b64 v[20:21], 3, v[20:21]
	s_lshl_b64 s[24:25], s[48:49], 3
	v_add_co_u32_e32 v20, vcc, v24, v20
	s_waitcnt lgkmcnt(0)
	s_add_u32 s11, s46, s24
	v_addc_co_u32_e32 v21, vcc, v25, v21, vcc
	s_addc_u32 s33, s47, s25
	v_mov_b32_e32 v22, s33
	v_add_co_u32_e32 v20, vcc, s11, v20
	v_addc_co_u32_e32 v21, vcc, v22, v21, vcc
	v_mad_u64_u32 v[22:23], s[26:27], s52, v14, 0
	v_mov_b32_e32 v24, v23
	v_mad_u64_u32 v[24:25], s[26:27], s53, v14, v[24:25]
	v_mov_b32_e32 v23, v24
	v_lshlrev_b64 v[22:23], 3, v[22:23]
	v_add_co_u32_e32 v24, vcc, v12, v22
	v_addc_co_u32_e32 v25, vcc, v13, v23, vcc
	v_mad_u64_u32 v[12:13], s[26:27], s50, v0, 0
	v_mov_b32_e32 v22, v13
	v_mad_u64_u32 v[22:23], s[26:27], s51, v0, v[22:23]
	v_mov_b32_e32 v13, v22
	v_mov_b32_e32 v1, 0
	v_lshlrev_b64 v[12:13], 3, v[12:13]
	v_lshl_or_b32 v26, v0, 2, v14
	v_cmp_lt_u64_e64 s[4:5], v[0:1], v[2:3]
	v_cmp_lt_u64_e64 s[6:7], v[0:1], v[8:9]
	v_add_co_u32_e32 v0, vcc, v24, v12
	v_addc_co_u32_e32 v12, vcc, v25, v13, vcc
	v_add_co_u32_e32 v22, vcc, s11, v0
	v_mbcnt_hi_u32_b32 v0, -1, v29
	v_mov_b32_e32 v13, s33
	v_and_or_b32 v0, v0, 64, v26
	v_cmp_lt_u64_e64 s[2:3], v[10:11], v[2:3]
	s_lshl_b64 s[24:25], s[50:51], 5
	v_addc_co_u32_e32 v23, vcc, v13, v12, vcc
	s_lshl_b64 s[26:27], s[52:53], 5
	s_mov_b64 s[44:45], 0
	v_lshlrev_b32_e32 v31, 2, v0
	v_mov_b32_e32 v12, v1
	v_mov_b32_e32 v0, v1
	;; [unrolled: 1-line block ×3, first 2 shown]
	s_branch .LBB58_6
.LBB58_3:                               ;   in Loop: Header=BB58_6 Depth=1
	s_or_b64 exec, exec, s[48:49]
.LBB58_4:                               ;   in Loop: Header=BB58_6 Depth=1
	s_or_b64 exec, exec, s[46:47]
	s_waitcnt vmcnt(0)
	ds_bpermute_b32 v26, v31, v26
	ds_bpermute_b32 v27, v31, v27
.LBB58_5:                               ;   in Loop: Header=BB58_6 Depth=1
	s_waitcnt vmcnt(0) lgkmcnt(0)
	v_cndmask_b32_e64 v50, v25, -v25, s[34:35]
	v_cndmask_b32_e64 v27, v27, -v27, s[36:37]
	v_mfma_f32_16x16x4f32 v[32:35], v24, v26, 0
	v_add_co_u32_e32 v16, vcc, s20, v16
	s_add_u32 s44, s44, 4
	s_addc_u32 s45, s45, 0
	v_mfma_f32_16x16x4f32 v[40:43], v50, v27, 0
	v_mfma_f32_16x16x4f32 v[36:39], v24, v27, 0
	ds_read2_b32 v[24:25], v30 offset1:1
	ds_read2_b32 v[44:45], v30 offset0:3 offset1:4
	ds_read2_b32 v[46:47], v30 offset0:2 offset1:3
	;; [unrolled: 1-line block ×3, first 2 shown]
	s_nop 5
	v_sub_f32_e32 v35, v35, v43
	v_sub_f32_e32 v34, v34, v42
	v_sub_f32_e32 v33, v33, v41
	v_sub_f32_e32 v32, v32, v40
	s_waitcnt lgkmcnt(1)
	v_mov_b32_e32 v25, v46
	v_pk_add_f32 v[24:25], v[24:25], v[32:33]
	v_pk_add_f32 v[12:13], v[12:13], v[34:35]
	v_mfma_f32_16x16x4f32 v[32:35], v50, v26, 0
	s_waitcnt lgkmcnt(0)
	v_mov_b32_e32 v49, v44
	s_nop 7
	s_nop 0
	v_pk_add_f32 v[26:27], v[38:39], v[34:35]
	v_pk_add_f32 v[32:33], v[36:37], v[32:33]
	;; [unrolled: 1-line block ×4, first 2 shown]
	ds_write2_b32 v30, v24, v26 offset1:1
	ds_write2_b32 v30, v25, v27 offset0:2 offset1:3
	ds_write_b32 v30, v12 offset:16
	v_mov_b32_e32 v24, s21
	v_addc_co_u32_e32 v17, vcc, v17, v24, vcc
	v_mov_b32_e32 v24, s23
	v_add_co_u32_e32 v18, vcc, s22, v18
	v_addc_co_u32_e32 v19, vcc, v19, v24, vcc
	v_mov_b32_e32 v24, s25
	v_add_co_u32_e32 v20, vcc, s24, v20
	v_addc_co_u32_e32 v21, vcc, v21, v24, vcc
	v_mov_b32_e32 v24, s27
	v_add_co_u32_e32 v22, vcc, s26, v22
	v_addc_co_u32_e32 v23, vcc, v23, v24, vcc
	v_pk_mov_b32 v[32:33], s[16:17], s[16:17] op_sel:[0,1]
	v_cmp_ge_i64_e32 vcc, s[44:45], v[32:33]
	s_cbranch_vccnz .LBB58_28
.LBB58_6:                               ; =>This Inner Loop Header: Depth=1
	s_and_b64 vcc, exec, s[14:15]
	s_cbranch_vccz .LBB58_18
; %bb.7:                                ;   in Loop: Header=BB58_6 Depth=1
	v_mov_b32_e32 v24, 0
	v_mov_b32_e32 v25, 0
	s_and_saveexec_b64 s[46:47], s[2:3]
	s_cbranch_execz .LBB58_11
; %bb.8:                                ;   in Loop: Header=BB58_6 Depth=1
	v_mov_b32_e32 v25, s45
	v_add_co_u32_e32 v24, vcc, s44, v28
	v_addc_co_u32_e32 v25, vcc, 0, v25, vcc
	v_cmp_gt_i64_e32 vcc, s[16:17], v[24:25]
	v_mov_b32_e32 v25, 0
	v_mov_b32_e32 v24, 0
	s_and_saveexec_b64 s[48:49], vcc
	s_cbranch_execz .LBB58_10
; %bb.9:                                ;   in Loop: Header=BB58_6 Depth=1
	global_load_dwordx2 v[24:25], v[18:19], off
.LBB58_10:                              ;   in Loop: Header=BB58_6 Depth=1
	s_or_b64 exec, exec, s[48:49]
.LBB58_11:                              ;   in Loop: Header=BB58_6 Depth=1
	s_or_b64 exec, exec, s[46:47]
	s_waitcnt vmcnt(0)
	ds_bpermute_b32 v24, v31, v24
	ds_bpermute_b32 v25, v31, v25
.LBB58_12:                              ;   in Loop: Header=BB58_6 Depth=1
	s_and_b64 vcc, exec, s[18:19]
	s_cbranch_vccz .LBB58_24
.LBB58_13:                              ;   in Loop: Header=BB58_6 Depth=1
	v_mov_b32_e32 v27, 0
	v_mov_b32_e32 v26, 0
	s_and_saveexec_b64 s[46:47], s[6:7]
	s_cbranch_execz .LBB58_17
; %bb.14:                               ;   in Loop: Header=BB58_6 Depth=1
	v_mov_b32_e32 v27, s45
	v_add_co_u32_e32 v26, vcc, s44, v14
	v_addc_co_u32_e32 v27, vcc, 0, v27, vcc
	v_cmp_gt_i64_e32 vcc, s[16:17], v[26:27]
	v_mov_b32_e32 v27, 0
	v_mov_b32_e32 v26, 0
	s_and_saveexec_b64 s[48:49], vcc
	s_cbranch_execz .LBB58_16
; %bb.15:                               ;   in Loop: Header=BB58_6 Depth=1
	global_load_dwordx2 v[26:27], v[22:23], off
.LBB58_16:                              ;   in Loop: Header=BB58_6 Depth=1
	s_or_b64 exec, exec, s[48:49]
.LBB58_17:                              ;   in Loop: Header=BB58_6 Depth=1
	s_or_b64 exec, exec, s[46:47]
	s_cbranch_execnz .LBB58_5
	s_branch .LBB58_25
.LBB58_18:                              ;   in Loop: Header=BB58_6 Depth=1
                                        ; implicit-def: $vgpr25
	s_cbranch_execz .LBB58_12
; %bb.19:                               ;   in Loop: Header=BB58_6 Depth=1
	s_waitcnt lgkmcnt(0)
	v_mov_b32_e32 v25, 0
	v_mov_b32_e32 v24, 0
	s_and_saveexec_b64 s[46:47], s[4:5]
	s_cbranch_execz .LBB58_23
; %bb.20:                               ;   in Loop: Header=BB58_6 Depth=1
	v_mov_b32_e32 v25, s45
	v_add_co_u32_e32 v24, vcc, s44, v14
	v_addc_co_u32_e32 v25, vcc, 0, v25, vcc
	v_cmp_gt_i64_e32 vcc, s[16:17], v[24:25]
	v_mov_b32_e32 v25, 0
	v_mov_b32_e32 v24, 0
	s_and_saveexec_b64 s[48:49], vcc
	s_cbranch_execz .LBB58_22
; %bb.21:                               ;   in Loop: Header=BB58_6 Depth=1
	global_load_dwordx2 v[24:25], v[16:17], off
.LBB58_22:                              ;   in Loop: Header=BB58_6 Depth=1
	s_or_b64 exec, exec, s[48:49]
.LBB58_23:                              ;   in Loop: Header=BB58_6 Depth=1
	s_or_b64 exec, exec, s[46:47]
	s_and_b64 vcc, exec, s[18:19]
	s_cbranch_vccnz .LBB58_13
.LBB58_24:                              ;   in Loop: Header=BB58_6 Depth=1
                                        ; implicit-def: $vgpr27
.LBB58_25:                              ;   in Loop: Header=BB58_6 Depth=1
	s_waitcnt vmcnt(0)
	v_mov_b32_e32 v26, 0
	v_mov_b32_e32 v27, 0
	s_and_saveexec_b64 s[46:47], s[0:1]
	s_cbranch_execz .LBB58_4
; %bb.26:                               ;   in Loop: Header=BB58_6 Depth=1
	v_mov_b32_e32 v27, s45
	v_add_co_u32_e32 v26, vcc, s44, v28
	v_addc_co_u32_e32 v27, vcc, 0, v27, vcc
	v_cmp_gt_i64_e32 vcc, s[16:17], v[26:27]
	v_mov_b32_e32 v27, 0
	v_mov_b32_e32 v26, 0
	s_and_saveexec_b64 s[48:49], vcc
	s_cbranch_execz .LBB58_3
; %bb.27:                               ;   in Loop: Header=BB58_6 Depth=1
	global_load_dwordx2 v[26:27], v[20:21], off
	s_branch .LBB58_3
.LBB58_28:
	ds_read_b32 v18, v30
.LBB58_29:
	s_mul_i32 s0, s10, s31
	s_mul_hi_u32 s1, s10, s30
	s_add_i32 s1, s1, s0
	s_mul_i32 s0, s10, s30
	s_lshl_b64 s[0:1], s[0:1], 3
	s_add_u32 s2, s38, s0
	s_addc_u32 s3, s39, s1
	s_lshl_b64 s[0:1], s[40:41], 3
	s_add_u32 s2, s2, s0
	s_addc_u32 s3, s3, s1
	v_mul_lo_u32 v14, v7, s28
	v_mul_lo_u32 v16, v6, s29
	v_mad_u64_u32 v[6:7], s[0:1], v6, s28, 0
	v_add3_u32 v7, v7, v16, v14
	v_mul_lo_u32 v14, v5, s42
	v_mul_lo_u32 v16, v4, s43
	v_mad_u64_u32 v[4:5], s[0:1], v4, s42, 0
	v_lshlrev_b64 v[6:7], 3, v[6:7]
	v_add3_u32 v5, v5, v16, v14
	v_mov_b32_e32 v14, s3
	v_add_co_u32_e32 v6, vcc, s2, v6
	v_addc_co_u32_e32 v7, vcc, v14, v7, vcc
	v_lshlrev_b64 v[4:5], 3, v[4:5]
	v_add_co_u32_e32 v16, vcc, v6, v4
	v_lshl_or_b32 v6, v15, 4, v10
	v_addc_co_u32_e32 v17, vcc, v7, v5, vcc
	v_mbcnt_hi_u32_b32 v7, -1, v29
	v_and_b32_e32 v6, 63, v6
	v_and_or_b32 v6, v7, 64, v6
	v_lshlrev_b32_e32 v14, 2, v6
	v_mad_u64_u32 v[6:7], s[0:1], v10, s28, 0
	v_cmp_lt_u64_e32 vcc, v[10:11], v[8:9]
	v_mov_b32_e32 v8, v7
	v_mad_u64_u32 v[8:9], s[0:1], v10, s29, v[8:9]
	v_mov_b32_e32 v7, v8
	v_lshlrev_b64 v[8:9], 3, v[6:7]
	s_waitcnt lgkmcnt(0)
	ds_bpermute_b32 v6, v14, v18
	ds_bpermute_b32 v7, v14, v26
	v_add_co_u32_e64 v10, s[0:1], v16, v8
	v_lshlrev_b32_e32 v4, 2, v28
	v_mov_b32_e32 v5, 0
	v_addc_co_u32_e64 v11, s[0:1], v17, v9, s[0:1]
	v_cmp_lt_u64_e64 s[0:1], v[4:5], v[2:3]
	s_and_b64 s[0:1], vcc, s[0:1]
	s_and_saveexec_b64 s[2:3], s[0:1]
	s_cbranch_execz .LBB58_31
; %bb.30:
	v_mad_u64_u32 v[8:9], s[0:1], v4, s42, 0
	v_mov_b32_e32 v16, v9
	v_mad_u64_u32 v[16:17], s[0:1], v4, s43, v[16:17]
	v_mov_b32_e32 v9, v16
	v_lshlrev_b64 v[8:9], 3, v[8:9]
	v_add_co_u32_e64 v8, s[0:1], v10, v8
	v_addc_co_u32_e64 v9, s[0:1], v11, v9, s[0:1]
	global_load_dwordx2 v[16:17], v[8:9], off
	s_waitcnt lgkmcnt(0)
	v_pk_mul_f32 v[18:19], s[12:13], v[6:7]
	v_mul_f32_e32 v7, s12, v7
	v_fmac_f32_e32 v7, s13, v6
	v_sub_f32_e32 v15, v18, v19
	s_waitcnt vmcnt(0)
	v_mul_f32_e32 v6, s9, v17
	v_mul_f32_e32 v17, s8, v17
	v_fma_f32 v6, s8, v16, -v6
	v_fmac_f32_e32 v17, s9, v16
	v_add_f32_e32 v6, v15, v6
	v_add_f32_e32 v7, v7, v17
	global_store_dwordx2 v[8:9], v[6:7], off
.LBB58_31:
	s_or_b64 exec, exec, s[2:3]
	s_waitcnt lgkmcnt(1)
	ds_bpermute_b32 v6, v14, v25
	s_waitcnt lgkmcnt(1)
	ds_bpermute_b32 v7, v14, v27
	v_or_b32_e32 v8, 1, v4
	v_mov_b32_e32 v9, v5
	v_cmp_lt_u64_e64 s[0:1], v[8:9], v[2:3]
	s_and_b64 s[0:1], vcc, s[0:1]
	s_and_saveexec_b64 s[2:3], s[0:1]
	s_cbranch_execz .LBB58_33
; %bb.32:
	v_mad_u64_u32 v[16:17], s[0:1], v8, s42, 0
	v_mov_b32_e32 v18, v17
	v_mad_u64_u32 v[8:9], s[0:1], v8, s43, v[18:19]
	v_mov_b32_e32 v17, v8
	v_lshlrev_b64 v[8:9], 3, v[16:17]
	v_add_co_u32_e64 v8, s[0:1], v10, v8
	v_addc_co_u32_e64 v9, s[0:1], v11, v9, s[0:1]
	global_load_dwordx2 v[16:17], v[8:9], off
	s_waitcnt lgkmcnt(1)
	v_mul_f32_e32 v15, s13, v6
	s_waitcnt lgkmcnt(0)
	v_pk_mul_f32 v[18:19], s[12:13], v[6:7]
	v_fmac_f32_e32 v15, s12, v7
	v_sub_f32_e32 v6, v18, v19
	s_waitcnt vmcnt(0)
	v_mul_f32_e32 v7, s9, v17
	v_mul_f32_e32 v17, s8, v17
	v_fma_f32 v7, s8, v16, -v7
	v_fmac_f32_e32 v17, s9, v16
	v_add_f32_e32 v6, v6, v7
	v_add_f32_e32 v7, v15, v17
	global_store_dwordx2 v[8:9], v[6:7], off
.LBB58_33:
	s_or_b64 exec, exec, s[2:3]
	s_waitcnt lgkmcnt(1)
	ds_bpermute_b32 v6, v14, v12
	s_waitcnt lgkmcnt(1)
	ds_bpermute_b32 v7, v14, v0
	v_or_b32_e32 v8, 2, v4
	v_mov_b32_e32 v9, v5
	v_cmp_lt_u64_e64 s[0:1], v[8:9], v[2:3]
	s_and_b64 s[0:1], vcc, s[0:1]
	s_and_saveexec_b64 s[2:3], s[0:1]
	s_cbranch_execz .LBB58_35
; %bb.34:
	v_mad_u64_u32 v[16:17], s[0:1], v8, s42, 0
	v_mov_b32_e32 v0, v17
	v_mad_u64_u32 v[8:9], s[0:1], v8, s43, v[0:1]
	v_mov_b32_e32 v17, v8
	v_lshlrev_b64 v[8:9], 3, v[16:17]
	v_add_co_u32_e64 v8, s[0:1], v10, v8
	v_addc_co_u32_e64 v9, s[0:1], v11, v9, s[0:1]
	global_load_dwordx2 v[16:17], v[8:9], off
	s_waitcnt lgkmcnt(1)
	v_mul_f32_e32 v0, s13, v6
	s_waitcnt lgkmcnt(0)
	v_pk_mul_f32 v[18:19], s[12:13], v[6:7]
	v_fmac_f32_e32 v0, s12, v7
	v_sub_f32_e32 v6, v18, v19
	s_waitcnt vmcnt(0)
	v_mul_f32_e32 v7, s9, v17
	v_mul_f32_e32 v12, s8, v17
	v_fma_f32 v7, s8, v16, -v7
	v_fmac_f32_e32 v12, s9, v16
	v_add_f32_e32 v6, v6, v7
	v_add_f32_e32 v7, v0, v12
	global_store_dwordx2 v[8:9], v[6:7], off
.LBB58_35:
	s_or_b64 exec, exec, s[2:3]
	ds_bpermute_b32 v0, v14, v13
	ds_bpermute_b32 v1, v14, v1
	v_or_b32_e32 v4, 3, v4
	v_cmp_lt_u64_e64 s[0:1], v[4:5], v[2:3]
	s_and_b64 s[0:1], vcc, s[0:1]
	s_and_b64 exec, exec, s[0:1]
	s_cbranch_execz .LBB58_37
; %bb.36:
	v_mad_u64_u32 v[2:3], s[0:1], v4, s42, 0
	s_waitcnt lgkmcnt(3)
	v_mov_b32_e32 v6, v3
	s_waitcnt lgkmcnt(2)
	v_mad_u64_u32 v[4:5], s[0:1], v4, s43, v[6:7]
	v_mov_b32_e32 v3, v4
	v_lshlrev_b64 v[2:3], 3, v[2:3]
	v_add_co_u32_e32 v2, vcc, v10, v2
	v_addc_co_u32_e32 v3, vcc, v11, v3, vcc
	global_load_dwordx2 v[4:5], v[2:3], off
	s_waitcnt lgkmcnt(0)
	v_pk_mul_f32 v[6:7], s[12:13], v[0:1]
	v_mov_b32_e32 v6, v1
	s_mov_b32 s0, s13
	v_mov_b32_e32 v8, v7
	v_pk_mul_f32 v[6:7], s[12:13], v[6:7] op_sel_hi:[1,0]
	v_pk_fma_f32 v[8:9], s[12:13], v[0:1], v[8:9] neg_lo:[0,0,1] neg_hi:[0,0,1]
	v_pk_fma_f32 v[0:1], s[0:1], v[0:1], v[6:7]
	s_mov_b32 s2, s9
	s_waitcnt vmcnt(0)
	v_pk_mul_f32 v[6:7], s[8:9], v[4:5]
	v_mov_b32_e32 v6, v5
	v_mov_b32_e32 v10, v7
	v_pk_mul_f32 v[6:7], s[8:9], v[6:7]
	v_pk_fma_f32 v[10:11], s[8:9], v[4:5], v[10:11] neg_lo:[0,0,1] neg_hi:[0,0,1]
	v_pk_fma_f32 v[4:5], s[2:3], v[4:5], v[6:7]
	v_pk_add_f32 v[6:7], v[8:9], v[10:11]
	v_pk_add_f32 v[0:1], v[0:1], v[4:5]
	v_mov_b32_e32 v7, v0
	global_store_dwordx2 v[2:3], v[6:7], off
.LBB58_37:
	s_endpgm
	.section	.rodata,"a",@progbits
	.p2align	6, 0x0
	.amdhsa_kernel _ZN9rocsolver6v33100L16mfma_gemm_kernelI19rocblas_complex_numIfElPKS3_PS3_PKS6_S6_EEv18rocblas_operation_S9_T0_SA_SA_T1_T2_lSA_SA_lT3_lSA_SA_lSB_T4_lSA_SA_l
		.amdhsa_group_segment_fixed_size 20480
		.amdhsa_private_segment_fixed_size 0
		.amdhsa_kernarg_size 424
		.amdhsa_user_sgpr_count 8
		.amdhsa_user_sgpr_private_segment_buffer 1
		.amdhsa_user_sgpr_dispatch_ptr 1
		.amdhsa_user_sgpr_queue_ptr 0
		.amdhsa_user_sgpr_kernarg_segment_ptr 1
		.amdhsa_user_sgpr_dispatch_id 0
		.amdhsa_user_sgpr_flat_scratch_init 0
		.amdhsa_user_sgpr_kernarg_preload_length 0
		.amdhsa_user_sgpr_kernarg_preload_offset 0
		.amdhsa_user_sgpr_private_segment_size 0
		.amdhsa_uses_dynamic_stack 0
		.amdhsa_system_sgpr_private_segment_wavefront_offset 0
		.amdhsa_system_sgpr_workgroup_id_x 1
		.amdhsa_system_sgpr_workgroup_id_y 1
		.amdhsa_system_sgpr_workgroup_id_z 1
		.amdhsa_system_sgpr_workgroup_info 0
		.amdhsa_system_vgpr_workitem_id 2
		.amdhsa_next_free_vgpr 51
		.amdhsa_next_free_sgpr 56
		.amdhsa_accum_offset 52
		.amdhsa_reserve_vcc 1
		.amdhsa_reserve_flat_scratch 0
		.amdhsa_float_round_mode_32 0
		.amdhsa_float_round_mode_16_64 0
		.amdhsa_float_denorm_mode_32 3
		.amdhsa_float_denorm_mode_16_64 3
		.amdhsa_dx10_clamp 1
		.amdhsa_ieee_mode 1
		.amdhsa_fp16_overflow 0
		.amdhsa_tg_split 0
		.amdhsa_exception_fp_ieee_invalid_op 0
		.amdhsa_exception_fp_denorm_src 0
		.amdhsa_exception_fp_ieee_div_zero 0
		.amdhsa_exception_fp_ieee_overflow 0
		.amdhsa_exception_fp_ieee_underflow 0
		.amdhsa_exception_fp_ieee_inexact 0
		.amdhsa_exception_int_div_zero 0
	.end_amdhsa_kernel
	.section	.text._ZN9rocsolver6v33100L16mfma_gemm_kernelI19rocblas_complex_numIfElPKS3_PS3_PKS6_S6_EEv18rocblas_operation_S9_T0_SA_SA_T1_T2_lSA_SA_lT3_lSA_SA_lSB_T4_lSA_SA_l,"axG",@progbits,_ZN9rocsolver6v33100L16mfma_gemm_kernelI19rocblas_complex_numIfElPKS3_PS3_PKS6_S6_EEv18rocblas_operation_S9_T0_SA_SA_T1_T2_lSA_SA_lT3_lSA_SA_lSB_T4_lSA_SA_l,comdat
.Lfunc_end58:
	.size	_ZN9rocsolver6v33100L16mfma_gemm_kernelI19rocblas_complex_numIfElPKS3_PS3_PKS6_S6_EEv18rocblas_operation_S9_T0_SA_SA_T1_T2_lSA_SA_lT3_lSA_SA_lSB_T4_lSA_SA_l, .Lfunc_end58-_ZN9rocsolver6v33100L16mfma_gemm_kernelI19rocblas_complex_numIfElPKS3_PS3_PKS6_S6_EEv18rocblas_operation_S9_T0_SA_SA_T1_T2_lSA_SA_lT3_lSA_SA_lSB_T4_lSA_SA_l
                                        ; -- End function
	.section	.AMDGPU.csdata,"",@progbits
; Kernel info:
; codeLenInByte = 2700
; NumSgprs: 60
; NumVgprs: 51
; NumAgprs: 0
; TotalNumVgprs: 51
; ScratchSize: 0
; MemoryBound: 0
; FloatMode: 240
; IeeeMode: 1
; LDSByteSize: 20480 bytes/workgroup (compile time only)
; SGPRBlocks: 7
; VGPRBlocks: 6
; NumSGPRsForWavesPerEU: 60
; NumVGPRsForWavesPerEU: 51
; AccumOffset: 52
; Occupancy: 8
; WaveLimiterHint : 1
; COMPUTE_PGM_RSRC2:SCRATCH_EN: 0
; COMPUTE_PGM_RSRC2:USER_SGPR: 8
; COMPUTE_PGM_RSRC2:TRAP_HANDLER: 0
; COMPUTE_PGM_RSRC2:TGID_X_EN: 1
; COMPUTE_PGM_RSRC2:TGID_Y_EN: 1
; COMPUTE_PGM_RSRC2:TGID_Z_EN: 1
; COMPUTE_PGM_RSRC2:TIDIG_COMP_CNT: 2
; COMPUTE_PGM_RSRC3_GFX90A:ACCUM_OFFSET: 12
; COMPUTE_PGM_RSRC3_GFX90A:TG_SPLIT: 0
	.section	.text._ZN9rocsolver6v33100L16mfma_gemm_kernelI19rocblas_complex_numIfElS3_PS3_PKS4_S4_EEv18rocblas_operation_S7_T0_S8_S8_T1_T2_lS8_S8_lT3_lS8_S8_lS9_T4_lS8_S8_l,"axG",@progbits,_ZN9rocsolver6v33100L16mfma_gemm_kernelI19rocblas_complex_numIfElS3_PS3_PKS4_S4_EEv18rocblas_operation_S7_T0_S8_S8_T1_T2_lS8_S8_lT3_lS8_S8_lS9_T4_lS8_S8_l,comdat
	.globl	_ZN9rocsolver6v33100L16mfma_gemm_kernelI19rocblas_complex_numIfElS3_PS3_PKS4_S4_EEv18rocblas_operation_S7_T0_S8_S8_T1_T2_lS8_S8_lT3_lS8_S8_lS9_T4_lS8_S8_l ; -- Begin function _ZN9rocsolver6v33100L16mfma_gemm_kernelI19rocblas_complex_numIfElS3_PS3_PKS4_S4_EEv18rocblas_operation_S7_T0_S8_S8_T1_T2_lS8_S8_lT3_lS8_S8_lS9_T4_lS8_S8_l
	.p2align	8
	.type	_ZN9rocsolver6v33100L16mfma_gemm_kernelI19rocblas_complex_numIfElS3_PS3_PKS4_S4_EEv18rocblas_operation_S7_T0_S8_S8_T1_T2_lS8_S8_lT3_lS8_S8_lS9_T4_lS8_S8_l,@function
_ZN9rocsolver6v33100L16mfma_gemm_kernelI19rocblas_complex_numIfElS3_PS3_PKS4_S4_EEv18rocblas_operation_S7_T0_S8_S8_T1_T2_lS8_S8_lT3_lS8_S8_lS9_T4_lS8_S8_l: ; @_ZN9rocsolver6v33100L16mfma_gemm_kernelI19rocblas_complex_numIfElS3_PS3_PKS4_S4_EEv18rocblas_operation_S7_T0_S8_S8_T1_T2_lS8_S8_lT3_lS8_S8_lS9_T4_lS8_S8_l
; %bb.0:
	s_load_dword s0, s[6:7], 0xb4
	s_load_dwordx4 s[12:15], s[6:7], 0x8
	v_and_b32_e32 v1, 0x3ff, v0
	v_lshrrev_b32_e32 v2, 6, v1
	v_mov_b32_e32 v3, 0
	s_waitcnt lgkmcnt(0)
	s_lshr_b32 s2, s0, 16
	s_bfe_u32 s0, s0, 0xa0006
	v_mov_b32_e32 v4, s8
	v_bfe_u32 v8, v0, 10, 10
	v_mov_b32_e32 v9, v3
	v_mad_u64_u32 v[16:17], s[0:1], s0, v4, v[2:3]
	v_mov_b32_e32 v2, s9
	v_mad_u64_u32 v[20:21], s[0:1], s2, v2, v[8:9]
	v_lshlrev_b64 v[4:5], 4, v[16:17]
	v_lshlrev_b64 v[6:7], 4, v[20:21]
	v_cmp_gt_i64_e32 vcc, s[12:13], v[4:5]
	v_cmp_gt_i64_e64 s[0:1], s[14:15], v[6:7]
	s_mov_b32 s11, 0
	s_and_b64 s[0:1], vcc, s[0:1]
	s_and_saveexec_b64 s[2:3], s[0:1]
	s_cbranch_execz .LBB59_37
; %bb.1:
	s_load_dwordx2 s[0:1], s[4:5], 0x4
	v_bfe_u32 v0, v0, 20, 10
	s_load_dwordx4 s[28:31], s[6:7], 0x18
	s_load_dwordx2 s[34:35], s[6:7], 0x78
	v_bfe_u32 v10, v1, 2, 4
	v_mov_b32_e32 v11, v3
	s_waitcnt lgkmcnt(0)
	s_lshr_b32 s0, s0, 16
	s_mul_i32 s0, s0, s1
	v_mul_u32_u24_e32 v2, s1, v8
	v_mul_lo_u32 v8, s0, v1
	v_add3_u32 v0, v8, v2, v0
	v_add_co_u32_e32 v8, vcc, 16, v4
	v_addc_co_u32_e32 v9, vcc, 0, v5, vcc
	s_and_b32 s0, s12, 15
	v_mul_lo_u32 v30, v0, 20
	v_mov_b32_e32 v0, s0
	v_cmp_lt_u64_e32 vcc, s[12:13], v[8:9]
	v_cndmask_b32_e32 v2, 16, v0, vcc
	v_add_co_u32_e32 v8, vcc, 16, v6
	v_addc_co_u32_e32 v9, vcc, 0, v7, vcc
	s_and_b32 s0, s14, 15
	v_mov_b32_e32 v0, s0
	v_cmp_lt_u64_e32 vcc, s[14:15], v[8:9]
	v_cndmask_b32_e32 v8, 16, v0, vcc
	v_mov_b32_e32 v9, v3
	v_cmp_lt_i64_e64 s[0:1], s[28:29], 1
	v_and_b32_e32 v15, 63, v1
	v_and_b32_e32 v28, 3, v1
	s_and_b64 vcc, exec, s[0:1]
	v_cmp_lt_u64_e64 s[0:1], v[10:11], v[8:9]
	v_mbcnt_lo_u32_b32 v29, -1, 0
	v_mov_b32_e32 v13, v3
	v_mov_b32_e32 v0, v3
	;; [unrolled: 1-line block ×8, first 2 shown]
	ds_write2_b32 v30, v3, v3 offset0:2 offset1:3
	ds_write2_b32 v30, v3, v3 offset1:1
	ds_write_b32 v30, v3 offset:16
	s_cbranch_vccnz .LBB59_29
; %bb.2:
	s_load_dwordx16 s[12:27], s[6:7], 0x28
	s_load_dwordx2 s[40:41], s[6:7], 0x0
	s_lshl_b64 s[2:3], s[10:11], 3
	s_load_dwordx2 s[42:43], s[6:7], 0x68
	v_lshrrev_b32_e32 v14, 4, v15
	s_waitcnt lgkmcnt(0)
	s_add_u32 s2, s22, s2
	s_addc_u32 s3, s23, s3
	s_cmpk_lg_i32 s40, 0x6f
	s_cselect_b64 s[22:23], -1, 0
	s_cmpk_lg_i32 s41, 0x6f
	s_cselect_b64 s[36:37], -1, 0
	s_cmpk_eq_i32 s41, 0x6f
	s_cselect_b32 s11, s42, s26
	s_cselect_b32 s33, s43, s27
	s_cmpk_eq_i32 s40, 0x6f
	s_cselect_b32 s46, s16, s18
	s_cselect_b32 s47, s17, s19
	v_mul_lo_u32 v18, s47, v16
	v_mul_lo_u32 v17, s46, v17
	v_mad_u64_u32 v[12:13], s[46:47], s46, v16, 0
	v_add3_u32 v13, v13, v17, v18
	v_mad_u64_u32 v[16:17], s[46:47], s18, v14, 0
	v_mov_b32_e32 v18, v17
	v_mad_u64_u32 v[18:19], s[46:47], s19, v14, v[18:19]
	s_cmpk_eq_i32 s40, 0x71
	v_mov_b32_e32 v17, v18
	s_cselect_b64 s[38:39], -1, 0
	s_cmpk_eq_i32 s41, 0x71
	v_lshlrev_b64 v[12:13], 7, v[12:13]
	v_lshlrev_b64 v[16:17], 3, v[16:17]
	s_mul_i32 s21, s21, s10
	s_mul_hi_u32 s46, s20, s10
	s_cselect_b64 s[40:41], -1, 0
	v_add_co_u32_e32 v16, vcc, v12, v16
	s_add_i32 s21, s46, s21
	s_mul_i32 s20, s20, s10
	v_addc_co_u32_e32 v17, vcc, v13, v17, vcc
	s_lshl_b64 s[20:21], s[20:21], 3
	v_and_b32_e32 v0, 15, v15
	v_mov_b32_e32 v24, s21
	v_add_co_u32_e32 v22, vcc, s20, v16
	v_addc_co_u32_e32 v23, vcc, v17, v24, vcc
	v_mad_u64_u32 v[16:17], s[46:47], s16, v0, 0
	v_mov_b32_e32 v18, v17
	v_mad_u64_u32 v[18:19], s[46:47], s17, v0, v[18:19]
	v_mov_b32_e32 v17, v18
	v_lshlrev_b64 v[16:17], 3, v[16:17]
	s_lshl_b64 s[14:15], s[14:15], 3
	v_add_co_u32_e32 v16, vcc, v22, v16
	s_add_u32 s21, s12, s14
	v_addc_co_u32_e32 v17, vcc, v23, v17, vcc
	s_addc_u32 s46, s13, s15
	v_mov_b32_e32 v18, s46
	v_add_co_u32_e32 v16, vcc, s21, v16
	v_addc_co_u32_e32 v17, vcc, v18, v17, vcc
	v_mad_u64_u32 v[18:19], s[14:15], s18, v10, 0
	v_mov_b32_e32 v22, v19
	v_mad_u64_u32 v[22:23], s[14:15], s19, v10, v[22:23]
	v_mov_b32_e32 v19, v22
	v_lshlrev_b64 v[18:19], 3, v[18:19]
	v_add_co_u32_e32 v12, vcc, v12, v18
	v_addc_co_u32_e32 v13, vcc, v13, v19, vcc
	v_add_co_u32_e32 v22, vcc, s20, v12
	v_addc_co_u32_e32 v23, vcc, v13, v24, vcc
	v_mad_u64_u32 v[12:13], s[14:15], s16, v28, 0
	v_mov_b32_e32 v18, v13
	v_mad_u64_u32 v[18:19], s[14:15], s17, v28, v[18:19]
	v_mov_b32_e32 v13, v18
	v_lshlrev_b64 v[12:13], 3, v[12:13]
	v_add_co_u32_e32 v12, vcc, v22, v12
	v_addc_co_u32_e32 v13, vcc, v23, v13, vcc
	v_mov_b32_e32 v19, s46
	v_add_co_u32_e32 v18, vcc, s21, v12
	v_addc_co_u32_e32 v19, vcc, v19, v13, vcc
	s_lshl_b64 s[14:15], s[16:17], 5
	v_mul_lo_u32 v22, s33, v20
	v_mul_lo_u32 v21, s11, v21
	v_mad_u64_u32 v[12:13], s[16:17], s11, v20, 0
	v_add3_u32 v13, v13, v21, v22
	v_mad_u64_u32 v[20:21], s[16:17], s42, v10, 0
	v_mov_b32_e32 v22, v21
	v_mad_u64_u32 v[22:23], s[16:17], s43, v10, v[22:23]
	v_mov_b32_e32 v21, v22
	v_lshlrev_b64 v[12:13], 7, v[12:13]
	v_lshlrev_b64 v[20:21], 3, v[20:21]
	v_add_co_u32_e32 v24, vcc, v12, v20
	s_load_dwordx2 s[44:45], s[2:3], 0x0
	v_addc_co_u32_e32 v25, vcc, v13, v21, vcc
	v_mad_u64_u32 v[20:21], s[16:17], s26, v28, 0
	v_mov_b32_e32 v22, v21
	v_mad_u64_u32 v[22:23], s[16:17], s27, v28, v[22:23]
	v_mov_b32_e32 v21, v22
	s_lshl_b64 s[12:13], s[18:19], 5
	v_lshlrev_b64 v[20:21], 3, v[20:21]
	s_lshl_b64 s[16:17], s[24:25], 3
	v_add_co_u32_e32 v20, vcc, v24, v20
	s_waitcnt lgkmcnt(0)
	s_add_u32 s11, s44, s16
	v_addc_co_u32_e32 v21, vcc, v25, v21, vcc
	s_addc_u32 s20, s45, s17
	v_mov_b32_e32 v22, s20
	v_add_co_u32_e32 v20, vcc, s11, v20
	v_addc_co_u32_e32 v21, vcc, v22, v21, vcc
	v_mad_u64_u32 v[22:23], s[18:19], s42, v14, 0
	v_mov_b32_e32 v24, v23
	v_mad_u64_u32 v[24:25], s[18:19], s43, v14, v[24:25]
	v_mov_b32_e32 v23, v24
	v_lshlrev_b64 v[22:23], 3, v[22:23]
	v_add_co_u32_e32 v24, vcc, v12, v22
	v_addc_co_u32_e32 v25, vcc, v13, v23, vcc
	v_mad_u64_u32 v[12:13], s[18:19], s26, v0, 0
	v_mov_b32_e32 v22, v13
	v_mad_u64_u32 v[22:23], s[18:19], s27, v0, v[22:23]
	v_mov_b32_e32 v13, v22
	v_mov_b32_e32 v1, 0
	v_lshlrev_b64 v[12:13], 3, v[12:13]
	v_lshl_or_b32 v26, v0, 2, v14
	v_cmp_lt_u64_e64 s[4:5], v[0:1], v[2:3]
	v_cmp_lt_u64_e64 s[8:9], v[0:1], v[8:9]
	v_add_co_u32_e32 v0, vcc, v24, v12
	v_addc_co_u32_e32 v12, vcc, v25, v13, vcc
	v_add_co_u32_e32 v22, vcc, s11, v0
	v_mbcnt_hi_u32_b32 v0, -1, v29
	v_mov_b32_e32 v13, s20
	v_and_or_b32 v0, v0, 64, v26
	v_cmp_lt_u64_e64 s[2:3], v[10:11], v[2:3]
	s_lshl_b64 s[16:17], s[26:27], 5
	v_addc_co_u32_e32 v23, vcc, v13, v12, vcc
	s_lshl_b64 s[18:19], s[42:43], 5
	s_mov_b64 s[20:21], 0
	v_lshlrev_b32_e32 v31, 2, v0
	v_mov_b32_e32 v12, v1
	v_mov_b32_e32 v0, v1
	;; [unrolled: 1-line block ×3, first 2 shown]
	s_branch .LBB59_6
.LBB59_3:                               ;   in Loop: Header=BB59_6 Depth=1
	s_or_b64 exec, exec, s[26:27]
.LBB59_4:                               ;   in Loop: Header=BB59_6 Depth=1
	s_or_b64 exec, exec, s[24:25]
	s_waitcnt vmcnt(0)
	ds_bpermute_b32 v26, v31, v26
	ds_bpermute_b32 v27, v31, v27
.LBB59_5:                               ;   in Loop: Header=BB59_6 Depth=1
	s_waitcnt vmcnt(0) lgkmcnt(0)
	v_cndmask_b32_e64 v50, v25, -v25, s[38:39]
	v_cndmask_b32_e64 v27, v27, -v27, s[40:41]
	v_mfma_f32_16x16x4f32 v[32:35], v24, v26, 0
	v_add_co_u32_e32 v16, vcc, s12, v16
	s_add_u32 s20, s20, 4
	s_addc_u32 s21, s21, 0
	v_mfma_f32_16x16x4f32 v[40:43], v50, v27, 0
	v_mfma_f32_16x16x4f32 v[36:39], v24, v27, 0
	ds_read2_b32 v[24:25], v30 offset1:1
	ds_read2_b32 v[44:45], v30 offset0:3 offset1:4
	ds_read2_b32 v[46:47], v30 offset0:2 offset1:3
	;; [unrolled: 1-line block ×3, first 2 shown]
	s_nop 5
	v_sub_f32_e32 v35, v35, v43
	v_sub_f32_e32 v34, v34, v42
	;; [unrolled: 1-line block ×4, first 2 shown]
	s_waitcnt lgkmcnt(1)
	v_mov_b32_e32 v25, v46
	v_pk_add_f32 v[24:25], v[24:25], v[32:33]
	v_pk_add_f32 v[12:13], v[12:13], v[34:35]
	v_mfma_f32_16x16x4f32 v[32:35], v50, v26, 0
	s_waitcnt lgkmcnt(0)
	v_mov_b32_e32 v49, v44
	s_nop 7
	s_nop 0
	v_pk_add_f32 v[26:27], v[38:39], v[34:35]
	v_pk_add_f32 v[32:33], v[36:37], v[32:33]
	;; [unrolled: 1-line block ×4, first 2 shown]
	ds_write2_b32 v30, v24, v26 offset1:1
	ds_write2_b32 v30, v25, v27 offset0:2 offset1:3
	ds_write_b32 v30, v12 offset:16
	v_mov_b32_e32 v24, s13
	v_addc_co_u32_e32 v17, vcc, v17, v24, vcc
	v_mov_b32_e32 v24, s15
	v_add_co_u32_e32 v18, vcc, s14, v18
	v_addc_co_u32_e32 v19, vcc, v19, v24, vcc
	v_mov_b32_e32 v24, s17
	v_add_co_u32_e32 v20, vcc, s16, v20
	;; [unrolled: 3-line block ×3, first 2 shown]
	v_addc_co_u32_e32 v23, vcc, v23, v24, vcc
	v_pk_mov_b32 v[32:33], s[28:29], s[28:29] op_sel:[0,1]
	v_cmp_ge_i64_e32 vcc, s[20:21], v[32:33]
	s_cbranch_vccnz .LBB59_28
.LBB59_6:                               ; =>This Inner Loop Header: Depth=1
	s_and_b64 vcc, exec, s[22:23]
	s_cbranch_vccz .LBB59_18
; %bb.7:                                ;   in Loop: Header=BB59_6 Depth=1
	v_mov_b32_e32 v24, 0
	v_mov_b32_e32 v25, 0
	s_and_saveexec_b64 s[24:25], s[2:3]
	s_cbranch_execz .LBB59_11
; %bb.8:                                ;   in Loop: Header=BB59_6 Depth=1
	v_mov_b32_e32 v25, s21
	v_add_co_u32_e32 v24, vcc, s20, v28
	v_addc_co_u32_e32 v25, vcc, 0, v25, vcc
	v_cmp_gt_i64_e32 vcc, s[28:29], v[24:25]
	v_mov_b32_e32 v25, 0
	v_mov_b32_e32 v24, 0
	s_and_saveexec_b64 s[26:27], vcc
	s_cbranch_execz .LBB59_10
; %bb.9:                                ;   in Loop: Header=BB59_6 Depth=1
	global_load_dwordx2 v[24:25], v[18:19], off
.LBB59_10:                              ;   in Loop: Header=BB59_6 Depth=1
	s_or_b64 exec, exec, s[26:27]
.LBB59_11:                              ;   in Loop: Header=BB59_6 Depth=1
	s_or_b64 exec, exec, s[24:25]
	s_waitcnt vmcnt(0)
	ds_bpermute_b32 v24, v31, v24
	ds_bpermute_b32 v25, v31, v25
.LBB59_12:                              ;   in Loop: Header=BB59_6 Depth=1
	s_and_b64 vcc, exec, s[36:37]
	s_cbranch_vccz .LBB59_24
.LBB59_13:                              ;   in Loop: Header=BB59_6 Depth=1
	v_mov_b32_e32 v27, 0
	v_mov_b32_e32 v26, 0
	s_and_saveexec_b64 s[24:25], s[8:9]
	s_cbranch_execz .LBB59_17
; %bb.14:                               ;   in Loop: Header=BB59_6 Depth=1
	v_mov_b32_e32 v27, s21
	v_add_co_u32_e32 v26, vcc, s20, v14
	v_addc_co_u32_e32 v27, vcc, 0, v27, vcc
	v_cmp_gt_i64_e32 vcc, s[28:29], v[26:27]
	v_mov_b32_e32 v27, 0
	v_mov_b32_e32 v26, 0
	s_and_saveexec_b64 s[26:27], vcc
	s_cbranch_execz .LBB59_16
; %bb.15:                               ;   in Loop: Header=BB59_6 Depth=1
	global_load_dwordx2 v[26:27], v[22:23], off
.LBB59_16:                              ;   in Loop: Header=BB59_6 Depth=1
	s_or_b64 exec, exec, s[26:27]
.LBB59_17:                              ;   in Loop: Header=BB59_6 Depth=1
	s_or_b64 exec, exec, s[24:25]
	s_cbranch_execnz .LBB59_5
	s_branch .LBB59_25
.LBB59_18:                              ;   in Loop: Header=BB59_6 Depth=1
                                        ; implicit-def: $vgpr25
	s_cbranch_execz .LBB59_12
; %bb.19:                               ;   in Loop: Header=BB59_6 Depth=1
	s_waitcnt lgkmcnt(0)
	v_mov_b32_e32 v25, 0
	v_mov_b32_e32 v24, 0
	s_and_saveexec_b64 s[24:25], s[4:5]
	s_cbranch_execz .LBB59_23
; %bb.20:                               ;   in Loop: Header=BB59_6 Depth=1
	v_mov_b32_e32 v25, s21
	v_add_co_u32_e32 v24, vcc, s20, v14
	v_addc_co_u32_e32 v25, vcc, 0, v25, vcc
	v_cmp_gt_i64_e32 vcc, s[28:29], v[24:25]
	v_mov_b32_e32 v25, 0
	v_mov_b32_e32 v24, 0
	s_and_saveexec_b64 s[26:27], vcc
	s_cbranch_execz .LBB59_22
; %bb.21:                               ;   in Loop: Header=BB59_6 Depth=1
	global_load_dwordx2 v[24:25], v[16:17], off
.LBB59_22:                              ;   in Loop: Header=BB59_6 Depth=1
	s_or_b64 exec, exec, s[26:27]
.LBB59_23:                              ;   in Loop: Header=BB59_6 Depth=1
	s_or_b64 exec, exec, s[24:25]
	s_and_b64 vcc, exec, s[36:37]
	s_cbranch_vccnz .LBB59_13
.LBB59_24:                              ;   in Loop: Header=BB59_6 Depth=1
                                        ; implicit-def: $vgpr27
.LBB59_25:                              ;   in Loop: Header=BB59_6 Depth=1
	s_waitcnt vmcnt(0)
	v_mov_b32_e32 v26, 0
	v_mov_b32_e32 v27, 0
	s_and_saveexec_b64 s[24:25], s[0:1]
	s_cbranch_execz .LBB59_4
; %bb.26:                               ;   in Loop: Header=BB59_6 Depth=1
	v_mov_b32_e32 v27, s21
	v_add_co_u32_e32 v26, vcc, s20, v28
	v_addc_co_u32_e32 v27, vcc, 0, v27, vcc
	v_cmp_gt_i64_e32 vcc, s[28:29], v[26:27]
	v_mov_b32_e32 v27, 0
	v_mov_b32_e32 v26, 0
	s_and_saveexec_b64 s[26:27], vcc
	s_cbranch_execz .LBB59_3
; %bb.27:                               ;   in Loop: Header=BB59_6 Depth=1
	global_load_dwordx2 v[26:27], v[20:21], off
	s_branch .LBB59_3
.LBB59_28:
	ds_read_b32 v18, v30
.LBB59_29:
	s_load_dwordx2 s[0:1], s[6:7], 0xa0
	s_load_dwordx8 s[12:19], s[6:7], 0x80
	s_waitcnt lgkmcnt(0)
	s_mul_i32 s1, s10, s1
	s_mul_hi_u32 s2, s10, s0
	s_mul_i32 s0, s10, s0
	s_add_i32 s1, s2, s1
	s_lshl_b64 s[0:1], s[0:1], 3
	s_add_u32 s2, s12, s0
	s_addc_u32 s3, s13, s1
	s_lshl_b64 s[0:1], s[14:15], 3
	s_add_u32 s2, s2, s0
	s_addc_u32 s3, s3, s1
	v_mul_lo_u32 v14, v7, s18
	v_mul_lo_u32 v16, v6, s19
	v_mad_u64_u32 v[6:7], s[0:1], v6, s18, 0
	v_add3_u32 v7, v7, v16, v14
	v_mul_lo_u32 v14, v5, s16
	v_mul_lo_u32 v16, v4, s17
	v_mad_u64_u32 v[4:5], s[0:1], v4, s16, 0
	v_lshlrev_b64 v[6:7], 3, v[6:7]
	v_add3_u32 v5, v5, v16, v14
	v_mov_b32_e32 v14, s3
	v_add_co_u32_e32 v6, vcc, s2, v6
	v_addc_co_u32_e32 v7, vcc, v14, v7, vcc
	v_lshlrev_b64 v[4:5], 3, v[4:5]
	v_add_co_u32_e32 v16, vcc, v6, v4
	v_lshl_or_b32 v6, v15, 4, v10
	v_addc_co_u32_e32 v17, vcc, v7, v5, vcc
	v_mbcnt_hi_u32_b32 v7, -1, v29
	v_and_b32_e32 v6, 63, v6
	v_and_or_b32 v6, v7, 64, v6
	v_lshlrev_b32_e32 v14, 2, v6
	v_mad_u64_u32 v[6:7], s[0:1], v10, s18, 0
	v_cmp_lt_u64_e32 vcc, v[10:11], v[8:9]
	v_mov_b32_e32 v8, v7
	v_mad_u64_u32 v[8:9], s[0:1], v10, s19, v[8:9]
	v_mov_b32_e32 v7, v8
	v_lshlrev_b64 v[8:9], 3, v[6:7]
	ds_bpermute_b32 v6, v14, v18
	ds_bpermute_b32 v7, v14, v26
	v_add_co_u32_e64 v10, s[0:1], v16, v8
	v_lshlrev_b32_e32 v4, 2, v28
	v_mov_b32_e32 v5, 0
	v_addc_co_u32_e64 v11, s[0:1], v17, v9, s[0:1]
	v_cmp_lt_u64_e64 s[0:1], v[4:5], v[2:3]
	s_and_b64 s[0:1], vcc, s[0:1]
	s_and_saveexec_b64 s[2:3], s[0:1]
	s_cbranch_execz .LBB59_31
; %bb.30:
	v_mad_u64_u32 v[8:9], s[0:1], v4, s16, 0
	v_mov_b32_e32 v16, v9
	v_mad_u64_u32 v[16:17], s[0:1], v4, s17, v[16:17]
	v_mov_b32_e32 v9, v16
	v_lshlrev_b64 v[8:9], 3, v[8:9]
	v_add_co_u32_e64 v8, s[0:1], v10, v8
	v_addc_co_u32_e64 v9, s[0:1], v11, v9, s[0:1]
	global_load_dwordx2 v[16:17], v[8:9], off
	s_waitcnt lgkmcnt(0)
	v_pk_mul_f32 v[18:19], s[30:31], v[6:7]
	v_mul_f32_e32 v7, s30, v7
	v_fmac_f32_e32 v7, s31, v6
	v_sub_f32_e32 v15, v18, v19
	s_waitcnt vmcnt(0)
	v_mul_f32_e32 v6, s35, v17
	v_mul_f32_e32 v17, s34, v17
	v_fma_f32 v6, s34, v16, -v6
	v_fmac_f32_e32 v17, s35, v16
	v_add_f32_e32 v6, v15, v6
	v_add_f32_e32 v7, v7, v17
	global_store_dwordx2 v[8:9], v[6:7], off
.LBB59_31:
	s_or_b64 exec, exec, s[2:3]
	s_waitcnt lgkmcnt(1)
	ds_bpermute_b32 v6, v14, v25
	s_waitcnt lgkmcnt(1)
	ds_bpermute_b32 v7, v14, v27
	v_or_b32_e32 v8, 1, v4
	v_mov_b32_e32 v9, v5
	v_cmp_lt_u64_e64 s[0:1], v[8:9], v[2:3]
	s_and_b64 s[0:1], vcc, s[0:1]
	s_and_saveexec_b64 s[2:3], s[0:1]
	s_cbranch_execz .LBB59_33
; %bb.32:
	v_mad_u64_u32 v[16:17], s[0:1], v8, s16, 0
	v_mov_b32_e32 v18, v17
	v_mad_u64_u32 v[8:9], s[0:1], v8, s17, v[18:19]
	v_mov_b32_e32 v17, v8
	v_lshlrev_b64 v[8:9], 3, v[16:17]
	v_add_co_u32_e64 v8, s[0:1], v10, v8
	v_addc_co_u32_e64 v9, s[0:1], v11, v9, s[0:1]
	global_load_dwordx2 v[16:17], v[8:9], off
	s_waitcnt lgkmcnt(1)
	v_mul_f32_e32 v15, s31, v6
	s_waitcnt lgkmcnt(0)
	v_pk_mul_f32 v[18:19], s[30:31], v[6:7]
	v_fmac_f32_e32 v15, s30, v7
	v_sub_f32_e32 v6, v18, v19
	s_waitcnt vmcnt(0)
	v_mul_f32_e32 v7, s35, v17
	v_mul_f32_e32 v17, s34, v17
	v_fma_f32 v7, s34, v16, -v7
	v_fmac_f32_e32 v17, s35, v16
	v_add_f32_e32 v6, v6, v7
	v_add_f32_e32 v7, v15, v17
	global_store_dwordx2 v[8:9], v[6:7], off
.LBB59_33:
	s_or_b64 exec, exec, s[2:3]
	s_waitcnt lgkmcnt(1)
	ds_bpermute_b32 v6, v14, v12
	s_waitcnt lgkmcnt(1)
	ds_bpermute_b32 v7, v14, v0
	v_or_b32_e32 v8, 2, v4
	v_mov_b32_e32 v9, v5
	v_cmp_lt_u64_e64 s[0:1], v[8:9], v[2:3]
	s_and_b64 s[0:1], vcc, s[0:1]
	s_and_saveexec_b64 s[2:3], s[0:1]
	s_cbranch_execz .LBB59_35
; %bb.34:
	v_mad_u64_u32 v[16:17], s[0:1], v8, s16, 0
	v_mov_b32_e32 v0, v17
	v_mad_u64_u32 v[8:9], s[0:1], v8, s17, v[0:1]
	v_mov_b32_e32 v17, v8
	v_lshlrev_b64 v[8:9], 3, v[16:17]
	v_add_co_u32_e64 v8, s[0:1], v10, v8
	v_addc_co_u32_e64 v9, s[0:1], v11, v9, s[0:1]
	global_load_dwordx2 v[16:17], v[8:9], off
	s_waitcnt lgkmcnt(1)
	v_mul_f32_e32 v0, s31, v6
	s_waitcnt lgkmcnt(0)
	v_pk_mul_f32 v[18:19], s[30:31], v[6:7]
	v_fmac_f32_e32 v0, s30, v7
	v_sub_f32_e32 v6, v18, v19
	s_waitcnt vmcnt(0)
	v_mul_f32_e32 v7, s35, v17
	v_mul_f32_e32 v12, s34, v17
	v_fma_f32 v7, s34, v16, -v7
	v_fmac_f32_e32 v12, s35, v16
	v_add_f32_e32 v6, v6, v7
	v_add_f32_e32 v7, v0, v12
	global_store_dwordx2 v[8:9], v[6:7], off
.LBB59_35:
	s_or_b64 exec, exec, s[2:3]
	ds_bpermute_b32 v0, v14, v13
	ds_bpermute_b32 v1, v14, v1
	v_or_b32_e32 v4, 3, v4
	v_cmp_lt_u64_e64 s[0:1], v[4:5], v[2:3]
	s_and_b64 s[0:1], vcc, s[0:1]
	s_and_b64 exec, exec, s[0:1]
	s_cbranch_execz .LBB59_37
; %bb.36:
	v_mad_u64_u32 v[2:3], s[0:1], v4, s16, 0
	s_waitcnt lgkmcnt(3)
	v_mov_b32_e32 v6, v3
	s_waitcnt lgkmcnt(2)
	v_mad_u64_u32 v[4:5], s[0:1], v4, s17, v[6:7]
	v_mov_b32_e32 v3, v4
	v_lshlrev_b64 v[2:3], 3, v[2:3]
	v_add_co_u32_e32 v2, vcc, v10, v2
	v_addc_co_u32_e32 v3, vcc, v11, v3, vcc
	global_load_dwordx2 v[4:5], v[2:3], off
	s_waitcnt lgkmcnt(0)
	v_pk_mul_f32 v[6:7], s[30:31], v[0:1]
	v_mov_b32_e32 v6, v1
	s_mov_b32 s0, s31
	v_mov_b32_e32 v8, v7
	v_pk_mul_f32 v[6:7], s[30:31], v[6:7] op_sel_hi:[1,0]
	v_pk_fma_f32 v[8:9], s[30:31], v[0:1], v[8:9] neg_lo:[0,0,1] neg_hi:[0,0,1]
	v_pk_fma_f32 v[0:1], s[0:1], v[0:1], v[6:7]
	s_mov_b32 s2, s35
	s_waitcnt vmcnt(0)
	v_pk_mul_f32 v[6:7], s[34:35], v[4:5]
	v_mov_b32_e32 v6, v5
	v_mov_b32_e32 v10, v7
	v_pk_mul_f32 v[6:7], s[34:35], v[6:7]
	v_pk_fma_f32 v[10:11], s[34:35], v[4:5], v[10:11] neg_lo:[0,0,1] neg_hi:[0,0,1]
	v_pk_fma_f32 v[4:5], s[2:3], v[4:5], v[6:7]
	v_pk_add_f32 v[6:7], v[8:9], v[10:11]
	v_pk_add_f32 v[0:1], v[0:1], v[4:5]
	v_mov_b32_e32 v7, v0
	global_store_dwordx2 v[2:3], v[6:7], off
.LBB59_37:
	s_endpgm
	.section	.rodata,"a",@progbits
	.p2align	6, 0x0
	.amdhsa_kernel _ZN9rocsolver6v33100L16mfma_gemm_kernelI19rocblas_complex_numIfElS3_PS3_PKS4_S4_EEv18rocblas_operation_S7_T0_S8_S8_T1_T2_lS8_S8_lT3_lS8_S8_lS9_T4_lS8_S8_l
		.amdhsa_group_segment_fixed_size 20480
		.amdhsa_private_segment_fixed_size 0
		.amdhsa_kernarg_size 424
		.amdhsa_user_sgpr_count 8
		.amdhsa_user_sgpr_private_segment_buffer 1
		.amdhsa_user_sgpr_dispatch_ptr 1
		.amdhsa_user_sgpr_queue_ptr 0
		.amdhsa_user_sgpr_kernarg_segment_ptr 1
		.amdhsa_user_sgpr_dispatch_id 0
		.amdhsa_user_sgpr_flat_scratch_init 0
		.amdhsa_user_sgpr_kernarg_preload_length 0
		.amdhsa_user_sgpr_kernarg_preload_offset 0
		.amdhsa_user_sgpr_private_segment_size 0
		.amdhsa_uses_dynamic_stack 0
		.amdhsa_system_sgpr_private_segment_wavefront_offset 0
		.amdhsa_system_sgpr_workgroup_id_x 1
		.amdhsa_system_sgpr_workgroup_id_y 1
		.amdhsa_system_sgpr_workgroup_id_z 1
		.amdhsa_system_sgpr_workgroup_info 0
		.amdhsa_system_vgpr_workitem_id 2
		.amdhsa_next_free_vgpr 51
		.amdhsa_next_free_sgpr 48
		.amdhsa_accum_offset 52
		.amdhsa_reserve_vcc 1
		.amdhsa_reserve_flat_scratch 0
		.amdhsa_float_round_mode_32 0
		.amdhsa_float_round_mode_16_64 0
		.amdhsa_float_denorm_mode_32 3
		.amdhsa_float_denorm_mode_16_64 3
		.amdhsa_dx10_clamp 1
		.amdhsa_ieee_mode 1
		.amdhsa_fp16_overflow 0
		.amdhsa_tg_split 0
		.amdhsa_exception_fp_ieee_invalid_op 0
		.amdhsa_exception_fp_denorm_src 0
		.amdhsa_exception_fp_ieee_div_zero 0
		.amdhsa_exception_fp_ieee_overflow 0
		.amdhsa_exception_fp_ieee_underflow 0
		.amdhsa_exception_fp_ieee_inexact 0
		.amdhsa_exception_int_div_zero 0
	.end_amdhsa_kernel
	.section	.text._ZN9rocsolver6v33100L16mfma_gemm_kernelI19rocblas_complex_numIfElS3_PS3_PKS4_S4_EEv18rocblas_operation_S7_T0_S8_S8_T1_T2_lS8_S8_lT3_lS8_S8_lS9_T4_lS8_S8_l,"axG",@progbits,_ZN9rocsolver6v33100L16mfma_gemm_kernelI19rocblas_complex_numIfElS3_PS3_PKS4_S4_EEv18rocblas_operation_S7_T0_S8_S8_T1_T2_lS8_S8_lT3_lS8_S8_lS9_T4_lS8_S8_l,comdat
.Lfunc_end59:
	.size	_ZN9rocsolver6v33100L16mfma_gemm_kernelI19rocblas_complex_numIfElS3_PS3_PKS4_S4_EEv18rocblas_operation_S7_T0_S8_S8_T1_T2_lS8_S8_lT3_lS8_S8_lS9_T4_lS8_S8_l, .Lfunc_end59-_ZN9rocsolver6v33100L16mfma_gemm_kernelI19rocblas_complex_numIfElS3_PS3_PKS4_S4_EEv18rocblas_operation_S7_T0_S8_S8_T1_T2_lS8_S8_lT3_lS8_S8_lS9_T4_lS8_S8_l
                                        ; -- End function
	.section	.AMDGPU.csdata,"",@progbits
; Kernel info:
; codeLenInByte = 2700
; NumSgprs: 52
; NumVgprs: 51
; NumAgprs: 0
; TotalNumVgprs: 51
; ScratchSize: 0
; MemoryBound: 0
; FloatMode: 240
; IeeeMode: 1
; LDSByteSize: 20480 bytes/workgroup (compile time only)
; SGPRBlocks: 6
; VGPRBlocks: 6
; NumSGPRsForWavesPerEU: 52
; NumVGPRsForWavesPerEU: 51
; AccumOffset: 52
; Occupancy: 8
; WaveLimiterHint : 1
; COMPUTE_PGM_RSRC2:SCRATCH_EN: 0
; COMPUTE_PGM_RSRC2:USER_SGPR: 8
; COMPUTE_PGM_RSRC2:TRAP_HANDLER: 0
; COMPUTE_PGM_RSRC2:TGID_X_EN: 1
; COMPUTE_PGM_RSRC2:TGID_Y_EN: 1
; COMPUTE_PGM_RSRC2:TGID_Z_EN: 1
; COMPUTE_PGM_RSRC2:TIDIG_COMP_CNT: 2
; COMPUTE_PGM_RSRC3_GFX90A:ACCUM_OFFSET: 12
; COMPUTE_PGM_RSRC3_GFX90A:TG_SPLIT: 0
	.section	.text._ZN9rocsolver6v33100L11gemm_kernelI19rocblas_complex_numIfElPKS3_PS3_PKS6_S6_EEvT0_S9_S9_T1_bT2_lS9_S9_lbT3_lS9_S9_lSA_T4_lS9_S9_l,"axG",@progbits,_ZN9rocsolver6v33100L11gemm_kernelI19rocblas_complex_numIfElPKS3_PS3_PKS6_S6_EEvT0_S9_S9_T1_bT2_lS9_S9_lbT3_lS9_S9_lSA_T4_lS9_S9_l,comdat
	.globl	_ZN9rocsolver6v33100L11gemm_kernelI19rocblas_complex_numIfElPKS3_PS3_PKS6_S6_EEvT0_S9_S9_T1_bT2_lS9_S9_lbT3_lS9_S9_lSA_T4_lS9_S9_l ; -- Begin function _ZN9rocsolver6v33100L11gemm_kernelI19rocblas_complex_numIfElPKS3_PS3_PKS6_S6_EEvT0_S9_S9_T1_bT2_lS9_S9_lbT3_lS9_S9_lSA_T4_lS9_S9_l
	.p2align	8
	.type	_ZN9rocsolver6v33100L11gemm_kernelI19rocblas_complex_numIfElPKS3_PS3_PKS6_S6_EEvT0_S9_S9_T1_bT2_lS9_S9_lbT3_lS9_S9_lSA_T4_lS9_S9_l,@function
_ZN9rocsolver6v33100L11gemm_kernelI19rocblas_complex_numIfElPKS3_PS3_PKS6_S6_EEvT0_S9_S9_T1_bT2_lS9_S9_lbT3_lS9_S9_lSA_T4_lS9_S9_l: ; @_ZN9rocsolver6v33100L11gemm_kernelI19rocblas_complex_numIfElPKS3_PS3_PKS6_S6_EEvT0_S9_S9_T1_bT2_lS9_S9_lbT3_lS9_S9_lSA_T4_lS9_S9_l
; %bb.0:
	s_load_dword s0, s[4:5], 0xbc
	s_load_dwordx8 s[16:23], s[4:5], 0x0
	v_and_b32_e32 v4, 0x3ff, v0
	v_mov_b32_e32 v5, 0
	v_mov_b32_e32 v1, s6
	s_waitcnt lgkmcnt(0)
	s_lshr_b32 s2, s0, 16
	s_and_b32 s0, s0, 0xffff
	v_mad_u64_u32 v[2:3], s[0:1], s0, v1, v[4:5]
	v_bfe_u32 v4, v0, 10, 10
	v_mov_b32_e32 v0, s7
	v_mad_u64_u32 v[0:1], s[0:1], s2, v0, v[4:5]
	v_cmp_gt_i64_e32 vcc, s[16:17], v[2:3]
	v_cmp_gt_i64_e64 s[0:1], s[18:19], v[0:1]
	s_mov_b32 s9, 0
	s_and_b64 s[0:1], vcc, s[0:1]
	s_and_saveexec_b64 s[2:3], s[0:1]
	s_cbranch_execz .LBB60_9
; %bb.1:
	s_load_dwordx8 s[12:19], s[4:5], 0x80
	s_load_dwordx4 s[0:3], s[4:5], 0xa0
	s_load_dwordx2 s[10:11], s[22:23], 0x0
	v_mov_b32_e32 v4, 0
	s_waitcnt lgkmcnt(0)
	s_load_dwordx2 s[6:7], s[12:13], 0x0
	v_cmp_lt_i64_e64 s[12:13], s[20:21], 1
	s_and_b64 vcc, exec, s[12:13]
	s_cbranch_vccnz .LBB60_8
; %bb.2:
	s_load_dword s12, s[4:5], 0x20
	s_load_dwordx8 s[24:31], s[4:5], 0x58
	s_load_dwordx8 s[36:43], s[4:5], 0x28
	s_load_dwordx2 s[22:23], s[4:5], 0x48
	s_load_dword s13, s[4:5], 0x50
	s_lshl_b64 s[4:5], s[8:9], 3
	s_waitcnt lgkmcnt(0)
	s_add_u32 s4, s24, s4
	s_addc_u32 s5, s25, s5
	s_bitcmp1_b32 s12, 0
	s_load_dwordx2 s[24:25], s[4:5], 0x0
	s_cselect_b64 s[4:5], -1, 0
	s_xor_b64 s[4:5], s[4:5], -1
	s_bitcmp1_b32 s13, 0
	s_mul_i32 s9, s23, s8
	s_mul_hi_u32 s23, s22, s8
	s_cselect_b64 s[12:13], -1, 0
	v_mad_u64_u32 v[4:5], s[34:35], s40, v2, 0
	s_add_i32 s23, s23, s9
	s_mul_i32 s22, s22, s8
	s_lshl_b64 s[22:23], s[22:23], 3
	s_lshl_b64 s[34:35], s[38:39], 3
	s_add_u32 s9, s36, s34
	v_mul_lo_u32 v6, s41, v2
	v_mul_lo_u32 v7, s40, v3
	s_addc_u32 s33, s37, s35
	v_add3_u32 v5, v5, v7, v6
	s_add_u32 s9, s9, s22
	v_lshlrev_b64 v[4:5], 3, v[4:5]
	s_addc_u32 s22, s33, s23
	v_mov_b32_e32 v6, s22
	v_add_co_u32_e32 v4, vcc, s9, v4
	v_addc_co_u32_e32 v5, vcc, v6, v5, vcc
	v_add_co_u32_e32 v6, vcc, 4, v4
	v_addc_co_u32_e32 v7, vcc, 0, v5, vcc
	s_lshl_b64 s[22:23], s[42:43], 3
	v_mul_lo_u32 v8, s31, v0
	v_mul_lo_u32 v9, s30, v1
	v_mad_u64_u32 v[4:5], s[30:31], s30, v0, 0
	s_lshl_b64 s[26:27], s[26:27], 3
	v_add3_u32 v5, v5, v9, v8
	s_waitcnt lgkmcnt(0)
	s_add_u32 s9, s24, s26
	v_lshlrev_b64 v[4:5], 3, v[4:5]
	s_addc_u32 s24, s25, s27
	v_mov_b32_e32 v8, s24
	v_add_co_u32_e32 v4, vcc, s9, v4
	v_addc_co_u32_e32 v5, vcc, v8, v5, vcc
	v_add_co_u32_e32 v8, vcc, 4, v4
	s_lshl_b64 s[24:25], s[28:29], 3
	v_addc_co_u32_e32 v9, vcc, 0, v5, vcc
	v_mov_b32_e32 v5, 0
	v_mov_b32_e32 v12, s23
	;; [unrolled: 1-line block ×4, first 2 shown]
	s_branch .LBB60_4
.LBB60_3:                               ;   in Loop: Header=BB60_4 Depth=1
	global_load_dwordx2 v[14:15], v[8:9], off offset:-4
	v_add_co_u32_e32 v6, vcc, s22, v6
	s_add_u32 s20, s20, -1
	v_addc_co_u32_e32 v7, vcc, v7, v12, vcc
	s_addc_u32 s21, s21, -1
	v_add_co_u32_e32 v8, vcc, s24, v8
	s_cmp_eq_u64 s[20:21], 0
	v_addc_co_u32_e32 v9, vcc, v9, v13, vcc
	s_waitcnt vmcnt(0)
	v_cndmask_b32_e64 v15, v15, -v15, s[12:13]
	v_mul_f32_e32 v16, v14, v11
	v_mul_f32_e32 v11, v15, v11
	v_fmac_f32_e32 v16, v15, v10
	v_fma_f32 v10, v14, v10, -v11
	v_add_f32_e32 v5, v5, v16
	v_add_f32_e32 v4, v4, v10
	s_cbranch_scc1 .LBB60_8
.LBB60_4:                               ; =>This Inner Loop Header: Depth=1
	s_and_b64 vcc, exec, s[4:5]
	s_cbranch_vccz .LBB60_6
; %bb.5:                                ;   in Loop: Header=BB60_4 Depth=1
	global_load_dwordx2 v[10:11], v[6:7], off offset:-4
	s_cbranch_execnz .LBB60_3
	s_branch .LBB60_7
.LBB60_6:                               ;   in Loop: Header=BB60_4 Depth=1
                                        ; implicit-def: $vgpr11
.LBB60_7:                               ;   in Loop: Header=BB60_4 Depth=1
	global_load_dwordx2 v[10:11], v[6:7], off offset:-4
	s_waitcnt vmcnt(0)
	v_xor_b32_e32 v11, 0x80000000, v11
	s_branch .LBB60_3
.LBB60_8:
	s_mul_i32 s3, s8, s3
	s_mul_hi_u32 s4, s8, s2
	s_add_i32 s3, s4, s3
	s_mul_i32 s2, s8, s2
	s_lshl_b64 s[2:3], s[2:3], 3
	s_add_u32 s4, s14, s2
	s_addc_u32 s5, s15, s3
	s_lshl_b64 s[2:3], s[16:17], 3
	s_add_u32 s4, s4, s2
	s_addc_u32 s5, s5, s3
	v_mul_lo_u32 v6, v3, s18
	v_mul_lo_u32 v7, v2, s19
	v_mad_u64_u32 v[2:3], s[2:3], v2, s18, 0
	v_add3_u32 v3, v3, v7, v6
	v_mul_lo_u32 v6, v1, s0
	v_mul_lo_u32 v7, v0, s1
	v_mad_u64_u32 v[0:1], s[0:1], v0, s0, 0
	v_lshlrev_b64 v[2:3], 3, v[2:3]
	v_add3_u32 v1, v1, v7, v6
	v_mov_b32_e32 v6, s5
	v_add_co_u32_e32 v2, vcc, s4, v2
	v_addc_co_u32_e32 v3, vcc, v6, v3, vcc
	v_lshlrev_b64 v[0:1], 3, v[0:1]
	v_add_co_u32_e32 v0, vcc, v2, v0
	v_addc_co_u32_e32 v1, vcc, v3, v1, vcc
	global_load_dwordx2 v[2:3], v[0:1], off
	v_mul_f32_e32 v6, s11, v5
	v_mul_f32_e32 v5, s10, v5
	v_fma_f32 v6, s10, v4, -v6
	v_fmac_f32_e32 v5, s11, v4
	s_waitcnt vmcnt(0) lgkmcnt(0)
	v_mul_f32_e32 v4, s7, v3
	v_mul_f32_e32 v3, s6, v3
	v_fma_f32 v4, s6, v2, -v4
	v_fmac_f32_e32 v3, s7, v2
	v_add_f32_e32 v2, v6, v4
	v_add_f32_e32 v3, v5, v3
	global_store_dwordx2 v[0:1], v[2:3], off
.LBB60_9:
	s_endpgm
	.section	.rodata,"a",@progbits
	.p2align	6, 0x0
	.amdhsa_kernel _ZN9rocsolver6v33100L11gemm_kernelI19rocblas_complex_numIfElPKS3_PS3_PKS6_S6_EEvT0_S9_S9_T1_bT2_lS9_S9_lbT3_lS9_S9_lSA_T4_lS9_S9_l
		.amdhsa_group_segment_fixed_size 0
		.amdhsa_private_segment_fixed_size 0
		.amdhsa_kernarg_size 432
		.amdhsa_user_sgpr_count 6
		.amdhsa_user_sgpr_private_segment_buffer 1
		.amdhsa_user_sgpr_dispatch_ptr 0
		.amdhsa_user_sgpr_queue_ptr 0
		.amdhsa_user_sgpr_kernarg_segment_ptr 1
		.amdhsa_user_sgpr_dispatch_id 0
		.amdhsa_user_sgpr_flat_scratch_init 0
		.amdhsa_user_sgpr_kernarg_preload_length 0
		.amdhsa_user_sgpr_kernarg_preload_offset 0
		.amdhsa_user_sgpr_private_segment_size 0
		.amdhsa_uses_dynamic_stack 0
		.amdhsa_system_sgpr_private_segment_wavefront_offset 0
		.amdhsa_system_sgpr_workgroup_id_x 1
		.amdhsa_system_sgpr_workgroup_id_y 1
		.amdhsa_system_sgpr_workgroup_id_z 1
		.amdhsa_system_sgpr_workgroup_info 0
		.amdhsa_system_vgpr_workitem_id 1
		.amdhsa_next_free_vgpr 17
		.amdhsa_next_free_sgpr 44
		.amdhsa_accum_offset 20
		.amdhsa_reserve_vcc 1
		.amdhsa_reserve_flat_scratch 0
		.amdhsa_float_round_mode_32 0
		.amdhsa_float_round_mode_16_64 0
		.amdhsa_float_denorm_mode_32 3
		.amdhsa_float_denorm_mode_16_64 3
		.amdhsa_dx10_clamp 1
		.amdhsa_ieee_mode 1
		.amdhsa_fp16_overflow 0
		.amdhsa_tg_split 0
		.amdhsa_exception_fp_ieee_invalid_op 0
		.amdhsa_exception_fp_denorm_src 0
		.amdhsa_exception_fp_ieee_div_zero 0
		.amdhsa_exception_fp_ieee_overflow 0
		.amdhsa_exception_fp_ieee_underflow 0
		.amdhsa_exception_fp_ieee_inexact 0
		.amdhsa_exception_int_div_zero 0
	.end_amdhsa_kernel
	.section	.text._ZN9rocsolver6v33100L11gemm_kernelI19rocblas_complex_numIfElPKS3_PS3_PKS6_S6_EEvT0_S9_S9_T1_bT2_lS9_S9_lbT3_lS9_S9_lSA_T4_lS9_S9_l,"axG",@progbits,_ZN9rocsolver6v33100L11gemm_kernelI19rocblas_complex_numIfElPKS3_PS3_PKS6_S6_EEvT0_S9_S9_T1_bT2_lS9_S9_lbT3_lS9_S9_lSA_T4_lS9_S9_l,comdat
.Lfunc_end60:
	.size	_ZN9rocsolver6v33100L11gemm_kernelI19rocblas_complex_numIfElPKS3_PS3_PKS6_S6_EEvT0_S9_S9_T1_bT2_lS9_S9_lbT3_lS9_S9_lSA_T4_lS9_S9_l, .Lfunc_end60-_ZN9rocsolver6v33100L11gemm_kernelI19rocblas_complex_numIfElPKS3_PS3_PKS6_S6_EEvT0_S9_S9_T1_bT2_lS9_S9_lbT3_lS9_S9_lSA_T4_lS9_S9_l
                                        ; -- End function
	.section	.AMDGPU.csdata,"",@progbits
; Kernel info:
; codeLenInByte = 788
; NumSgprs: 48
; NumVgprs: 17
; NumAgprs: 0
; TotalNumVgprs: 17
; ScratchSize: 0
; MemoryBound: 0
; FloatMode: 240
; IeeeMode: 1
; LDSByteSize: 0 bytes/workgroup (compile time only)
; SGPRBlocks: 5
; VGPRBlocks: 2
; NumSGPRsForWavesPerEU: 48
; NumVGPRsForWavesPerEU: 17
; AccumOffset: 20
; Occupancy: 8
; WaveLimiterHint : 0
; COMPUTE_PGM_RSRC2:SCRATCH_EN: 0
; COMPUTE_PGM_RSRC2:USER_SGPR: 6
; COMPUTE_PGM_RSRC2:TRAP_HANDLER: 0
; COMPUTE_PGM_RSRC2:TGID_X_EN: 1
; COMPUTE_PGM_RSRC2:TGID_Y_EN: 1
; COMPUTE_PGM_RSRC2:TGID_Z_EN: 1
; COMPUTE_PGM_RSRC2:TIDIG_COMP_CNT: 1
; COMPUTE_PGM_RSRC3_GFX90A:ACCUM_OFFSET: 4
; COMPUTE_PGM_RSRC3_GFX90A:TG_SPLIT: 0
	.section	.text._ZN9rocsolver6v33100L11gemm_kernelI19rocblas_complex_numIfElS3_PS3_PKS4_S4_EEvT0_S7_S7_T1_bT2_lS7_S7_lbT3_lS7_S7_lS8_T4_lS7_S7_l,"axG",@progbits,_ZN9rocsolver6v33100L11gemm_kernelI19rocblas_complex_numIfElS3_PS3_PKS4_S4_EEvT0_S7_S7_T1_bT2_lS7_S7_lbT3_lS7_S7_lS8_T4_lS7_S7_l,comdat
	.globl	_ZN9rocsolver6v33100L11gemm_kernelI19rocblas_complex_numIfElS3_PS3_PKS4_S4_EEvT0_S7_S7_T1_bT2_lS7_S7_lbT3_lS7_S7_lS8_T4_lS7_S7_l ; -- Begin function _ZN9rocsolver6v33100L11gemm_kernelI19rocblas_complex_numIfElS3_PS3_PKS4_S4_EEvT0_S7_S7_T1_bT2_lS7_S7_lbT3_lS7_S7_lS8_T4_lS7_S7_l
	.p2align	8
	.type	_ZN9rocsolver6v33100L11gemm_kernelI19rocblas_complex_numIfElS3_PS3_PKS4_S4_EEvT0_S7_S7_T1_bT2_lS7_S7_lbT3_lS7_S7_lS8_T4_lS7_S7_l,@function
_ZN9rocsolver6v33100L11gemm_kernelI19rocblas_complex_numIfElS3_PS3_PKS4_S4_EEvT0_S7_S7_T1_bT2_lS7_S7_lbT3_lS7_S7_lS8_T4_lS7_S7_l: ; @_ZN9rocsolver6v33100L11gemm_kernelI19rocblas_complex_numIfElS3_PS3_PKS4_S4_EEvT0_S7_S7_T1_bT2_lS7_S7_lbT3_lS7_S7_lS8_T4_lS7_S7_l
; %bb.0:
	s_load_dword s10, s[4:5], 0xbc
	s_load_dwordx4 s[0:3], s[4:5], 0x0
	v_and_b32_e32 v4, 0x3ff, v0
	v_mov_b32_e32 v5, 0
	v_mov_b32_e32 v1, s6
	s_waitcnt lgkmcnt(0)
	s_lshr_b32 s12, s10, 16
	s_and_b32 s10, s10, 0xffff
	v_mad_u64_u32 v[2:3], s[10:11], s10, v1, v[4:5]
	v_bfe_u32 v4, v0, 10, 10
	v_mov_b32_e32 v0, s7
	v_mad_u64_u32 v[0:1], s[6:7], s12, v0, v[4:5]
	v_cmp_gt_i64_e32 vcc, s[0:1], v[2:3]
	v_cmp_gt_i64_e64 s[0:1], s[2:3], v[0:1]
	s_mov_b32 s9, 0
	s_and_b64 s[0:1], vcc, s[0:1]
	s_and_saveexec_b64 s[2:3], s[0:1]
	s_cbranch_execz .LBB61_9
; %bb.1:
	s_load_dwordx2 s[10:11], s[4:5], 0x10
	s_load_dwordx4 s[0:3], s[4:5], 0x18
	s_load_dwordx2 s[6:7], s[4:5], 0x80
	v_mov_b32_e32 v4, 0
	s_waitcnt lgkmcnt(0)
	v_cmp_lt_i64_e64 s[12:13], s[10:11], 1
	s_and_b64 vcc, exec, s[12:13]
	s_cbranch_vccnz .LBB61_8
; %bb.2:
	s_load_dwordx8 s[12:19], s[4:5], 0x58
	s_load_dwordx8 s[20:27], s[4:5], 0x28
	s_load_dwordx2 s[28:29], s[4:5], 0x48
	s_load_dword s33, s[4:5], 0x50
	s_lshl_b64 s[30:31], s[8:9], 3
	s_waitcnt lgkmcnt(0)
	s_add_u32 s12, s12, s30
	s_addc_u32 s13, s13, s31
	s_bitcmp1_b32 s2, 0
	s_cselect_b64 s[2:3], -1, 0
	s_xor_b64 s[2:3], s[2:3], -1
	v_mul_lo_u32 v6, s25, v2
	v_mul_lo_u32 v7, s24, v3
	v_mad_u64_u32 v[4:5], s[24:25], s24, v2, 0
	s_bitcmp1_b32 s33, 0
	s_mul_i32 s9, s29, s8
	s_mul_hi_u32 s24, s28, s8
	s_load_dwordx2 s[30:31], s[12:13], 0x0
	s_cselect_b64 s[12:13], -1, 0
	s_add_i32 s25, s24, s9
	s_mul_i32 s24, s28, s8
	s_lshl_b64 s[24:25], s[24:25], 3
	s_lshl_b64 s[22:23], s[22:23], 3
	s_add_u32 s9, s20, s22
	s_addc_u32 s20, s21, s23
	v_add3_u32 v5, v5, v7, v6
	s_add_u32 s9, s9, s24
	v_lshlrev_b64 v[4:5], 3, v[4:5]
	s_addc_u32 s20, s20, s25
	v_mov_b32_e32 v6, s20
	v_add_co_u32_e32 v4, vcc, s9, v4
	v_addc_co_u32_e32 v5, vcc, v6, v5, vcc
	v_add_co_u32_e32 v6, vcc, 4, v4
	v_addc_co_u32_e32 v7, vcc, 0, v5, vcc
	s_lshl_b64 s[20:21], s[26:27], 3
	v_mul_lo_u32 v8, s19, v0
	v_mul_lo_u32 v9, s18, v1
	v_mad_u64_u32 v[4:5], s[18:19], s18, v0, 0
	s_lshl_b64 s[14:15], s[14:15], 3
	v_add3_u32 v5, v5, v9, v8
	s_waitcnt lgkmcnt(0)
	s_add_u32 s9, s30, s14
	v_lshlrev_b64 v[4:5], 3, v[4:5]
	s_addc_u32 s14, s31, s15
	v_mov_b32_e32 v8, s14
	v_add_co_u32_e32 v4, vcc, s9, v4
	v_addc_co_u32_e32 v5, vcc, v8, v5, vcc
	v_add_co_u32_e32 v8, vcc, 4, v4
	s_lshl_b64 s[14:15], s[16:17], 3
	v_addc_co_u32_e32 v9, vcc, 0, v5, vcc
	v_mov_b32_e32 v5, 0
	v_mov_b32_e32 v12, s21
	;; [unrolled: 1-line block ×4, first 2 shown]
	s_branch .LBB61_4
.LBB61_3:                               ;   in Loop: Header=BB61_4 Depth=1
	global_load_dwordx2 v[14:15], v[8:9], off offset:-4
	v_add_co_u32_e32 v6, vcc, s20, v6
	s_add_u32 s10, s10, -1
	v_addc_co_u32_e32 v7, vcc, v7, v12, vcc
	s_addc_u32 s11, s11, -1
	v_add_co_u32_e32 v8, vcc, s14, v8
	s_cmp_eq_u64 s[10:11], 0
	v_addc_co_u32_e32 v9, vcc, v9, v13, vcc
	s_waitcnt vmcnt(0)
	v_cndmask_b32_e64 v15, v15, -v15, s[12:13]
	v_mul_f32_e32 v16, v14, v11
	v_mul_f32_e32 v11, v15, v11
	v_fmac_f32_e32 v16, v15, v10
	v_fma_f32 v10, v14, v10, -v11
	v_add_f32_e32 v5, v5, v16
	v_add_f32_e32 v4, v4, v10
	s_cbranch_scc1 .LBB61_8
.LBB61_4:                               ; =>This Inner Loop Header: Depth=1
	s_and_b64 vcc, exec, s[2:3]
	s_cbranch_vccz .LBB61_6
; %bb.5:                                ;   in Loop: Header=BB61_4 Depth=1
	global_load_dwordx2 v[10:11], v[6:7], off offset:-4
	s_cbranch_execnz .LBB61_3
	s_branch .LBB61_7
.LBB61_6:                               ;   in Loop: Header=BB61_4 Depth=1
                                        ; implicit-def: $vgpr11
.LBB61_7:                               ;   in Loop: Header=BB61_4 Depth=1
	global_load_dwordx2 v[10:11], v[6:7], off offset:-4
	s_waitcnt vmcnt(0)
	v_xor_b32_e32 v11, 0x80000000, v11
	s_branch .LBB61_3
.LBB61_8:
	s_load_dwordx2 s[2:3], s[4:5], 0xa8
	s_load_dwordx8 s[12:19], s[4:5], 0x88
	s_waitcnt lgkmcnt(0)
	s_mul_i32 s3, s8, s3
	s_mul_hi_u32 s4, s8, s2
	s_mul_i32 s2, s8, s2
	s_add_i32 s3, s4, s3
	s_lshl_b64 s[2:3], s[2:3], 3
	s_add_u32 s4, s12, s2
	s_addc_u32 s5, s13, s3
	s_lshl_b64 s[2:3], s[14:15], 3
	s_add_u32 s4, s4, s2
	s_addc_u32 s5, s5, s3
	v_mul_lo_u32 v6, v3, s16
	v_mul_lo_u32 v7, v2, s17
	v_mad_u64_u32 v[2:3], s[2:3], v2, s16, 0
	v_add3_u32 v3, v3, v7, v6
	v_mul_lo_u32 v6, v1, s18
	v_mul_lo_u32 v7, v0, s19
	v_mad_u64_u32 v[0:1], s[2:3], v0, s18, 0
	v_lshlrev_b64 v[2:3], 3, v[2:3]
	v_add3_u32 v1, v1, v7, v6
	v_mov_b32_e32 v6, s5
	v_add_co_u32_e32 v2, vcc, s4, v2
	v_addc_co_u32_e32 v3, vcc, v6, v3, vcc
	v_lshlrev_b64 v[0:1], 3, v[0:1]
	v_add_co_u32_e32 v0, vcc, v2, v0
	v_addc_co_u32_e32 v1, vcc, v3, v1, vcc
	global_load_dwordx2 v[2:3], v[0:1], off
	v_mul_f32_e32 v6, s1, v5
	v_mul_f32_e32 v5, s0, v5
	v_fma_f32 v6, s0, v4, -v6
	v_fmac_f32_e32 v5, s1, v4
	s_waitcnt vmcnt(0)
	v_mul_f32_e32 v4, s7, v3
	v_mul_f32_e32 v3, s6, v3
	v_fma_f32 v4, s6, v2, -v4
	v_fmac_f32_e32 v3, s7, v2
	v_add_f32_e32 v2, v6, v4
	v_add_f32_e32 v3, v5, v3
	global_store_dwordx2 v[0:1], v[2:3], off
.LBB61_9:
	s_endpgm
	.section	.rodata,"a",@progbits
	.p2align	6, 0x0
	.amdhsa_kernel _ZN9rocsolver6v33100L11gemm_kernelI19rocblas_complex_numIfElS3_PS3_PKS4_S4_EEvT0_S7_S7_T1_bT2_lS7_S7_lbT3_lS7_S7_lS8_T4_lS7_S7_l
		.amdhsa_group_segment_fixed_size 0
		.amdhsa_private_segment_fixed_size 0
		.amdhsa_kernarg_size 432
		.amdhsa_user_sgpr_count 6
		.amdhsa_user_sgpr_private_segment_buffer 1
		.amdhsa_user_sgpr_dispatch_ptr 0
		.amdhsa_user_sgpr_queue_ptr 0
		.amdhsa_user_sgpr_kernarg_segment_ptr 1
		.amdhsa_user_sgpr_dispatch_id 0
		.amdhsa_user_sgpr_flat_scratch_init 0
		.amdhsa_user_sgpr_kernarg_preload_length 0
		.amdhsa_user_sgpr_kernarg_preload_offset 0
		.amdhsa_user_sgpr_private_segment_size 0
		.amdhsa_uses_dynamic_stack 0
		.amdhsa_system_sgpr_private_segment_wavefront_offset 0
		.amdhsa_system_sgpr_workgroup_id_x 1
		.amdhsa_system_sgpr_workgroup_id_y 1
		.amdhsa_system_sgpr_workgroup_id_z 1
		.amdhsa_system_sgpr_workgroup_info 0
		.amdhsa_system_vgpr_workitem_id 1
		.amdhsa_next_free_vgpr 17
		.amdhsa_next_free_sgpr 34
		.amdhsa_accum_offset 20
		.amdhsa_reserve_vcc 1
		.amdhsa_reserve_flat_scratch 0
		.amdhsa_float_round_mode_32 0
		.amdhsa_float_round_mode_16_64 0
		.amdhsa_float_denorm_mode_32 3
		.amdhsa_float_denorm_mode_16_64 3
		.amdhsa_dx10_clamp 1
		.amdhsa_ieee_mode 1
		.amdhsa_fp16_overflow 0
		.amdhsa_tg_split 0
		.amdhsa_exception_fp_ieee_invalid_op 0
		.amdhsa_exception_fp_denorm_src 0
		.amdhsa_exception_fp_ieee_div_zero 0
		.amdhsa_exception_fp_ieee_overflow 0
		.amdhsa_exception_fp_ieee_underflow 0
		.amdhsa_exception_fp_ieee_inexact 0
		.amdhsa_exception_int_div_zero 0
	.end_amdhsa_kernel
	.section	.text._ZN9rocsolver6v33100L11gemm_kernelI19rocblas_complex_numIfElS3_PS3_PKS4_S4_EEvT0_S7_S7_T1_bT2_lS7_S7_lbT3_lS7_S7_lS8_T4_lS7_S7_l,"axG",@progbits,_ZN9rocsolver6v33100L11gemm_kernelI19rocblas_complex_numIfElS3_PS3_PKS4_S4_EEvT0_S7_S7_T1_bT2_lS7_S7_lbT3_lS7_S7_lS8_T4_lS7_S7_l,comdat
.Lfunc_end61:
	.size	_ZN9rocsolver6v33100L11gemm_kernelI19rocblas_complex_numIfElS3_PS3_PKS4_S4_EEvT0_S7_S7_T1_bT2_lS7_S7_lbT3_lS7_S7_lS8_T4_lS7_S7_l, .Lfunc_end61-_ZN9rocsolver6v33100L11gemm_kernelI19rocblas_complex_numIfElS3_PS3_PKS4_S4_EEvT0_S7_S7_T1_bT2_lS7_S7_lbT3_lS7_S7_lS8_T4_lS7_S7_l
                                        ; -- End function
	.section	.AMDGPU.csdata,"",@progbits
; Kernel info:
; codeLenInByte = 792
; NumSgprs: 38
; NumVgprs: 17
; NumAgprs: 0
; TotalNumVgprs: 17
; ScratchSize: 0
; MemoryBound: 0
; FloatMode: 240
; IeeeMode: 1
; LDSByteSize: 0 bytes/workgroup (compile time only)
; SGPRBlocks: 4
; VGPRBlocks: 2
; NumSGPRsForWavesPerEU: 38
; NumVGPRsForWavesPerEU: 17
; AccumOffset: 20
; Occupancy: 8
; WaveLimiterHint : 1
; COMPUTE_PGM_RSRC2:SCRATCH_EN: 0
; COMPUTE_PGM_RSRC2:USER_SGPR: 6
; COMPUTE_PGM_RSRC2:TRAP_HANDLER: 0
; COMPUTE_PGM_RSRC2:TGID_X_EN: 1
; COMPUTE_PGM_RSRC2:TGID_Y_EN: 1
; COMPUTE_PGM_RSRC2:TGID_Z_EN: 1
; COMPUTE_PGM_RSRC2:TIDIG_COMP_CNT: 1
; COMPUTE_PGM_RSRC3_GFX90A:ACCUM_OFFSET: 4
; COMPUTE_PGM_RSRC3_GFX90A:TG_SPLIT: 0
	.section	.text._ZN9rocsolver6v33100L16mfma_gemm_kernelI19rocblas_complex_numIfElPKS3_PS3_S6_PKS6_EEv18rocblas_operation_S9_T0_SA_SA_T1_T2_lSA_SA_lT3_lSA_SA_lSB_T4_lSA_SA_l,"axG",@progbits,_ZN9rocsolver6v33100L16mfma_gemm_kernelI19rocblas_complex_numIfElPKS3_PS3_S6_PKS6_EEv18rocblas_operation_S9_T0_SA_SA_T1_T2_lSA_SA_lT3_lSA_SA_lSB_T4_lSA_SA_l,comdat
	.globl	_ZN9rocsolver6v33100L16mfma_gemm_kernelI19rocblas_complex_numIfElPKS3_PS3_S6_PKS6_EEv18rocblas_operation_S9_T0_SA_SA_T1_T2_lSA_SA_lT3_lSA_SA_lSB_T4_lSA_SA_l ; -- Begin function _ZN9rocsolver6v33100L16mfma_gemm_kernelI19rocblas_complex_numIfElPKS3_PS3_S6_PKS6_EEv18rocblas_operation_S9_T0_SA_SA_T1_T2_lSA_SA_lT3_lSA_SA_lSB_T4_lSA_SA_l
	.p2align	8
	.type	_ZN9rocsolver6v33100L16mfma_gemm_kernelI19rocblas_complex_numIfElPKS3_PS3_S6_PKS6_EEv18rocblas_operation_S9_T0_SA_SA_T1_T2_lSA_SA_lT3_lSA_SA_lSB_T4_lSA_SA_l,@function
_ZN9rocsolver6v33100L16mfma_gemm_kernelI19rocblas_complex_numIfElPKS3_PS3_S6_PKS6_EEv18rocblas_operation_S9_T0_SA_SA_T1_T2_lSA_SA_lT3_lSA_SA_lSB_T4_lSA_SA_l: ; @_ZN9rocsolver6v33100L16mfma_gemm_kernelI19rocblas_complex_numIfElPKS3_PS3_S6_PKS6_EEv18rocblas_operation_S9_T0_SA_SA_T1_T2_lSA_SA_lT3_lSA_SA_lSB_T4_lSA_SA_l
; %bb.0:
	s_load_dword s0, s[6:7], 0xb4
	s_load_dwordx16 s[12:27], s[6:7], 0x8
	v_and_b32_e32 v1, 0x3ff, v0
	v_lshrrev_b32_e32 v2, 6, v1
	v_mov_b32_e32 v3, 0
	s_waitcnt lgkmcnt(0)
	s_lshr_b32 s2, s0, 16
	s_bfe_u32 s0, s0, 0xa0006
	v_mov_b32_e32 v4, s8
	v_bfe_u32 v8, v0, 10, 10
	v_mov_b32_e32 v9, v3
	v_mad_u64_u32 v[16:17], s[0:1], s0, v4, v[2:3]
	v_mov_b32_e32 v2, s9
	v_mad_u64_u32 v[20:21], s[0:1], s2, v2, v[8:9]
	v_lshlrev_b64 v[4:5], 4, v[16:17]
	v_lshlrev_b64 v[6:7], 4, v[20:21]
	v_cmp_gt_i64_e32 vcc, s[12:13], v[4:5]
	v_cmp_gt_i64_e64 s[0:1], s[14:15], v[6:7]
	s_mov_b32 s11, 0
	s_and_b64 s[0:1], vcc, s[0:1]
	s_and_saveexec_b64 s[2:3], s[0:1]
	s_cbranch_execz .LBB62_37
; %bb.1:
	s_load_dwordx2 s[0:1], s[4:5], 0x4
	s_load_dwordx16 s[36:51], s[6:7], 0x48
	v_bfe_u32 v0, v0, 20, 10
	v_bfe_u32 v10, v1, 2, 4
	v_mov_b32_e32 v11, v3
	s_waitcnt lgkmcnt(0)
	s_lshr_b32 s0, s0, 16
	s_mul_i32 s0, s0, s1
	v_mul_u32_u24_e32 v2, s1, v8
	v_mul_lo_u32 v8, s0, v1
	v_add3_u32 v0, v8, v2, v0
	v_add_co_u32_e32 v8, vcc, 16, v4
	v_addc_co_u32_e32 v9, vcc, 0, v5, vcc
	s_and_b32 s0, s12, 15
	v_mul_lo_u32 v30, v0, 20
	v_mov_b32_e32 v0, s0
	v_cmp_lt_u64_e32 vcc, s[12:13], v[8:9]
	s_and_b32 s0, s14, 15
	v_cndmask_b32_e32 v2, 16, v0, vcc
	v_mov_b32_e32 v0, s0
	s_lshl_b64 s[0:1], s[10:11], 3
	v_add_co_u32_e32 v8, vcc, 16, v6
	s_add_u32 s0, s50, s0
	v_addc_co_u32_e32 v9, vcc, 0, v7, vcc
	s_addc_u32 s1, s51, s1
	v_cmp_lt_u64_e32 vcc, s[14:15], v[8:9]
	s_load_dwordx2 s[14:15], s[18:19], 0x0
	s_load_dwordx2 s[12:13], s[48:49], 0x0
	v_cndmask_b32_e32 v8, 16, v0, vcc
	s_load_dwordx2 s[18:19], s[0:1], 0x0
	v_mov_b32_e32 v9, v3
	v_cmp_lt_i64_e64 s[0:1], s[16:17], 1
	v_and_b32_e32 v19, 63, v1
	v_and_b32_e32 v28, 3, v1
	s_and_b64 vcc, exec, s[0:1]
	v_cmp_lt_u64_e64 s[0:1], v[10:11], v[8:9]
	v_mbcnt_lo_u32_b32 v29, -1, 0
	v_mov_b32_e32 v13, v3
	v_mov_b32_e32 v0, v3
	;; [unrolled: 1-line block ×8, first 2 shown]
	ds_write2_b32 v30, v3, v3 offset0:2 offset1:3
	ds_write2_b32 v30, v3, v3 offset1:1
	ds_write_b32 v30, v3 offset:16
	s_cbranch_vccnz .LBB62_29
; %bb.2:
	s_load_dwordx2 s[48:49], s[6:7], 0x0
	v_lshrrev_b32_e32 v14, 4, v19
	s_mul_i32 s37, s37, s10
	v_and_b32_e32 v0, 15, v19
	v_mov_b32_e32 v1, 0
	s_waitcnt lgkmcnt(0)
	s_cmpk_lg_i32 s48, 0x6f
	s_cselect_b64 s[28:29], -1, 0
	s_cmpk_lg_i32 s49, 0x6f
	s_cselect_b64 s[30:31], -1, 0
	s_cmpk_eq_i32 s49, 0x6f
	s_cselect_b32 s11, s44, s42
	s_cselect_b32 s33, s45, s43
	s_cmpk_eq_i32 s48, 0x6f
	s_cselect_b32 s50, s24, s26
	s_cselect_b32 s51, s25, s27
	v_mul_lo_u32 v15, s51, v16
	v_mul_lo_u32 v17, s50, v17
	v_mad_u64_u32 v[12:13], s[50:51], s50, v16, 0
	v_add3_u32 v13, v13, v17, v15
	v_mad_u64_u32 v[16:17], s[50:51], s26, v14, 0
	v_mov_b32_e32 v18, v17
	v_mad_u64_u32 v[22:23], s[50:51], s27, v14, v[18:19]
	s_cmpk_eq_i32 s48, 0x71
	v_mov_b32_e32 v17, v22
	s_cselect_b64 s[34:35], -1, 0
	s_cmpk_eq_i32 s49, 0x71
	v_lshlrev_b64 v[12:13], 7, v[12:13]
	v_lshlrev_b64 v[16:17], 3, v[16:17]
	s_mul_hi_u32 s50, s36, s10
	s_cselect_b64 s[48:49], -1, 0
	v_add_co_u32_e32 v15, vcc, v12, v16
	s_add_i32 s37, s50, s37
	s_mul_i32 s36, s36, s10
	v_addc_co_u32_e32 v16, vcc, v13, v17, vcc
	s_lshl_b64 s[50:51], s[36:37], 3
	v_mov_b32_e32 v27, s51
	v_add_co_u32_e32 v15, vcc, s50, v15
	v_addc_co_u32_e32 v24, vcc, v16, v27, vcc
	v_mad_u64_u32 v[16:17], s[36:37], s24, v0, 0
	v_mov_b32_e32 v18, v17
	v_mad_u64_u32 v[22:23], s[36:37], s25, v0, v[18:19]
	v_mov_b32_e32 v17, v22
	v_lshlrev_b64 v[16:17], 3, v[16:17]
	v_add_co_u32_e32 v15, vcc, v15, v16
	v_addc_co_u32_e32 v17, vcc, v24, v17, vcc
	v_mov_b32_e32 v18, s21
	v_add_co_u32_e32 v16, vcc, s20, v15
	v_mad_u64_u32 v[22:23], s[52:53], s26, v10, 0
	v_addc_co_u32_e32 v15, vcc, v18, v17, vcc
	v_mov_b32_e32 v18, v23
	s_lshl_b64 s[36:37], s[26:27], 5
	v_mad_u64_u32 v[24:25], s[26:27], s27, v10, v[18:19]
	v_mov_b32_e32 v23, v24
	v_lshlrev_b64 v[22:23], 3, v[22:23]
	v_add_co_u32_e32 v12, vcc, v12, v22
	v_addc_co_u32_e32 v13, vcc, v13, v23, vcc
	v_add_co_u32_e32 v17, vcc, s50, v12
	v_addc_co_u32_e32 v24, vcc, v13, v27, vcc
	v_mad_u64_u32 v[12:13], s[26:27], s24, v28, 0
	v_mov_b32_e32 v18, v13
	v_mad_u64_u32 v[22:23], s[26:27], s25, v28, v[18:19]
	v_mov_b32_e32 v13, v22
	v_lshlrev_b64 v[12:13], 3, v[12:13]
	v_add_co_u32_e32 v12, vcc, v17, v12
	v_addc_co_u32_e32 v13, vcc, v24, v13, vcc
	v_mov_b32_e32 v17, s21
	v_add_co_u32_e32 v18, vcc, s20, v12
	v_addc_co_u32_e32 v17, vcc, v17, v13, vcc
	s_lshl_b64 s[20:21], s[24:25], 5
	v_mul_lo_u32 v22, s33, v20
	v_mul_lo_u32 v21, s11, v21
	v_mad_u64_u32 v[12:13], s[24:25], s11, v20, 0
	v_add3_u32 v13, v13, v21, v22
	v_mad_u64_u32 v[20:21], s[24:25], s44, v10, 0
	v_mov_b32_e32 v22, v21
	v_mad_u64_u32 v[22:23], s[24:25], s45, v10, v[22:23]
	v_mov_b32_e32 v21, v22
	v_lshlrev_b64 v[12:13], 7, v[12:13]
	v_lshlrev_b64 v[20:21], 3, v[20:21]
	s_mul_i32 s11, s47, s10
	s_mul_hi_u32 s24, s46, s10
	v_add_co_u32_e32 v20, vcc, v12, v20
	s_add_i32 s11, s24, s11
	s_mul_i32 s10, s46, s10
	v_addc_co_u32_e32 v21, vcc, v13, v21, vcc
	s_lshl_b64 s[24:25], s[10:11], 3
	v_mov_b32_e32 v27, s25
	v_add_co_u32_e32 v24, vcc, s24, v20
	v_addc_co_u32_e32 v25, vcc, v21, v27, vcc
	v_mad_u64_u32 v[20:21], s[10:11], s42, v28, 0
	v_mov_b32_e32 v22, v21
	v_mad_u64_u32 v[22:23], s[10:11], s43, v28, v[22:23]
	v_mov_b32_e32 v21, v22
	s_lshl_b64 s[22:23], s[22:23], 3
	v_lshlrev_b64 v[20:21], 3, v[20:21]
	s_lshl_b64 s[10:11], s[40:41], 3
	v_add_co_u32_e32 v20, vcc, v24, v20
	s_add_u32 s33, s38, s10
	v_addc_co_u32_e32 v21, vcc, v25, v21, vcc
	s_addc_u32 s38, s39, s11
	v_mov_b32_e32 v22, s38
	v_add_co_u32_e32 v20, vcc, s33, v20
	v_addc_co_u32_e32 v21, vcc, v22, v21, vcc
	v_mad_u64_u32 v[22:23], s[26:27], s44, v14, 0
	v_mov_b32_e32 v24, v23
	v_mad_u64_u32 v[24:25], s[26:27], s45, v14, v[24:25]
	v_mov_b32_e32 v23, v24
	v_lshlrev_b64 v[22:23], 3, v[22:23]
	v_add_co_u32_e32 v12, vcc, v12, v22
	v_addc_co_u32_e32 v13, vcc, v13, v23, vcc
	v_add_co_u32_e32 v24, vcc, s24, v12
	v_addc_co_u32_e32 v25, vcc, v13, v27, vcc
	v_mad_u64_u32 v[12:13], s[24:25], s42, v0, 0
	v_mov_b32_e32 v22, v13
	v_mad_u64_u32 v[22:23], s[24:25], s43, v0, v[22:23]
	v_mov_b32_e32 v13, v22
	v_lshlrev_b64 v[12:13], 3, v[12:13]
	v_lshl_or_b32 v26, v0, 2, v14
	v_cmp_lt_u64_e64 s[4:5], v[0:1], v[2:3]
	v_cmp_lt_u64_e64 s[8:9], v[0:1], v[8:9]
	v_add_co_u32_e32 v0, vcc, v24, v12
	v_addc_co_u32_e32 v12, vcc, v25, v13, vcc
	v_add_co_u32_e32 v22, vcc, s33, v0
	v_mbcnt_hi_u32_b32 v0, -1, v29
	v_mov_b32_e32 v13, s38
	v_and_or_b32 v0, v0, 64, v26
	v_cmp_lt_u64_e64 s[2:3], v[10:11], v[2:3]
	s_lshl_b64 s[10:11], s[42:43], 5
	v_addc_co_u32_e32 v23, vcc, v13, v12, vcc
	s_lshl_b64 s[24:25], s[44:45], 5
	s_mov_b64 s[26:27], 0
	v_lshlrev_b32_e32 v31, 2, v0
	v_mov_b32_e32 v12, v1
	v_mov_b32_e32 v0, v1
	;; [unrolled: 1-line block ×3, first 2 shown]
	s_branch .LBB62_6
.LBB62_3:                               ;   in Loop: Header=BB62_6 Depth=1
	s_or_b64 exec, exec, s[40:41]
.LBB62_4:                               ;   in Loop: Header=BB62_6 Depth=1
	s_or_b64 exec, exec, s[38:39]
	s_waitcnt vmcnt(0)
	ds_bpermute_b32 v26, v31, v26
	ds_bpermute_b32 v27, v31, v27
.LBB62_5:                               ;   in Loop: Header=BB62_6 Depth=1
	s_waitcnt vmcnt(0) lgkmcnt(0)
	v_cndmask_b32_e64 v50, v25, -v25, s[34:35]
	v_cndmask_b32_e64 v27, v27, -v27, s[48:49]
	v_mfma_f32_16x16x4f32 v[32:35], v24, v26, 0
	v_add_co_u32_e32 v16, vcc, s36, v16
	s_add_u32 s26, s26, 4
	s_addc_u32 s27, s27, 0
	v_mfma_f32_16x16x4f32 v[40:43], v50, v27, 0
	v_mfma_f32_16x16x4f32 v[36:39], v24, v27, 0
	ds_read2_b32 v[24:25], v30 offset1:1
	ds_read2_b32 v[44:45], v30 offset0:3 offset1:4
	ds_read2_b32 v[46:47], v30 offset0:2 offset1:3
	;; [unrolled: 1-line block ×3, first 2 shown]
	s_nop 5
	v_sub_f32_e32 v35, v35, v43
	v_sub_f32_e32 v34, v34, v42
	;; [unrolled: 1-line block ×4, first 2 shown]
	s_waitcnt lgkmcnt(1)
	v_mov_b32_e32 v25, v46
	v_pk_add_f32 v[24:25], v[24:25], v[32:33]
	v_pk_add_f32 v[12:13], v[12:13], v[34:35]
	v_mfma_f32_16x16x4f32 v[32:35], v50, v26, 0
	s_waitcnt lgkmcnt(0)
	v_mov_b32_e32 v49, v44
	s_nop 7
	s_nop 0
	v_pk_add_f32 v[26:27], v[38:39], v[34:35]
	v_pk_add_f32 v[32:33], v[36:37], v[32:33]
	;; [unrolled: 1-line block ×4, first 2 shown]
	ds_write2_b32 v30, v24, v26 offset1:1
	ds_write2_b32 v30, v25, v27 offset0:2 offset1:3
	ds_write_b32 v30, v12 offset:16
	v_mov_b32_e32 v24, s37
	v_addc_co_u32_e32 v15, vcc, v15, v24, vcc
	v_mov_b32_e32 v24, s21
	v_add_co_u32_e32 v18, vcc, s20, v18
	v_addc_co_u32_e32 v17, vcc, v17, v24, vcc
	v_mov_b32_e32 v24, s11
	v_add_co_u32_e32 v20, vcc, s10, v20
	v_addc_co_u32_e32 v21, vcc, v21, v24, vcc
	v_mov_b32_e32 v24, s25
	v_add_co_u32_e32 v22, vcc, s24, v22
	v_addc_co_u32_e32 v23, vcc, v23, v24, vcc
	v_pk_mov_b32 v[32:33], s[16:17], s[16:17] op_sel:[0,1]
	v_cmp_ge_i64_e32 vcc, s[26:27], v[32:33]
	s_cbranch_vccnz .LBB62_28
.LBB62_6:                               ; =>This Inner Loop Header: Depth=1
	s_and_b64 vcc, exec, s[28:29]
	s_cbranch_vccz .LBB62_18
; %bb.7:                                ;   in Loop: Header=BB62_6 Depth=1
	v_mov_b32_e32 v24, 0
	v_mov_b32_e32 v25, 0
	s_and_saveexec_b64 s[38:39], s[2:3]
	s_cbranch_execz .LBB62_11
; %bb.8:                                ;   in Loop: Header=BB62_6 Depth=1
	v_mov_b32_e32 v25, s27
	v_add_co_u32_e32 v24, vcc, s26, v28
	v_addc_co_u32_e32 v25, vcc, 0, v25, vcc
	v_cmp_gt_i64_e32 vcc, s[16:17], v[24:25]
	v_mov_b32_e32 v25, 0
	v_mov_b32_e32 v24, 0
	s_and_saveexec_b64 s[40:41], vcc
	s_cbranch_execz .LBB62_10
; %bb.9:                                ;   in Loop: Header=BB62_6 Depth=1
	v_mov_b32_e32 v25, s23
	v_add_co_u32_e32 v24, vcc, s22, v18
	v_addc_co_u32_e32 v25, vcc, v17, v25, vcc
	global_load_dwordx2 v[24:25], v[24:25], off
.LBB62_10:                              ;   in Loop: Header=BB62_6 Depth=1
	s_or_b64 exec, exec, s[40:41]
.LBB62_11:                              ;   in Loop: Header=BB62_6 Depth=1
	s_or_b64 exec, exec, s[38:39]
	s_waitcnt vmcnt(0)
	ds_bpermute_b32 v24, v31, v24
	ds_bpermute_b32 v25, v31, v25
.LBB62_12:                              ;   in Loop: Header=BB62_6 Depth=1
	s_and_b64 vcc, exec, s[30:31]
	s_cbranch_vccz .LBB62_24
.LBB62_13:                              ;   in Loop: Header=BB62_6 Depth=1
	v_mov_b32_e32 v27, 0
	v_mov_b32_e32 v26, 0
	s_and_saveexec_b64 s[38:39], s[8:9]
	s_cbranch_execz .LBB62_17
; %bb.14:                               ;   in Loop: Header=BB62_6 Depth=1
	v_mov_b32_e32 v27, s27
	v_add_co_u32_e32 v26, vcc, s26, v14
	v_addc_co_u32_e32 v27, vcc, 0, v27, vcc
	v_cmp_gt_i64_e32 vcc, s[16:17], v[26:27]
	v_mov_b32_e32 v27, 0
	v_mov_b32_e32 v26, 0
	s_and_saveexec_b64 s[40:41], vcc
	s_cbranch_execz .LBB62_16
; %bb.15:                               ;   in Loop: Header=BB62_6 Depth=1
	global_load_dwordx2 v[26:27], v[22:23], off
.LBB62_16:                              ;   in Loop: Header=BB62_6 Depth=1
	s_or_b64 exec, exec, s[40:41]
.LBB62_17:                              ;   in Loop: Header=BB62_6 Depth=1
	s_or_b64 exec, exec, s[38:39]
	s_cbranch_execnz .LBB62_5
	s_branch .LBB62_25
.LBB62_18:                              ;   in Loop: Header=BB62_6 Depth=1
                                        ; implicit-def: $vgpr25
	s_cbranch_execz .LBB62_12
; %bb.19:                               ;   in Loop: Header=BB62_6 Depth=1
	s_waitcnt lgkmcnt(0)
	v_mov_b32_e32 v25, 0
	v_mov_b32_e32 v24, 0
	s_and_saveexec_b64 s[38:39], s[4:5]
	s_cbranch_execz .LBB62_23
; %bb.20:                               ;   in Loop: Header=BB62_6 Depth=1
	v_mov_b32_e32 v25, s27
	v_add_co_u32_e32 v24, vcc, s26, v14
	v_addc_co_u32_e32 v25, vcc, 0, v25, vcc
	v_cmp_gt_i64_e32 vcc, s[16:17], v[24:25]
	v_mov_b32_e32 v25, 0
	v_mov_b32_e32 v24, 0
	s_and_saveexec_b64 s[40:41], vcc
	s_cbranch_execz .LBB62_22
; %bb.21:                               ;   in Loop: Header=BB62_6 Depth=1
	v_mov_b32_e32 v25, s23
	v_add_co_u32_e32 v24, vcc, s22, v16
	v_addc_co_u32_e32 v25, vcc, v15, v25, vcc
	global_load_dwordx2 v[24:25], v[24:25], off
.LBB62_22:                              ;   in Loop: Header=BB62_6 Depth=1
	s_or_b64 exec, exec, s[40:41]
.LBB62_23:                              ;   in Loop: Header=BB62_6 Depth=1
	s_or_b64 exec, exec, s[38:39]
	s_and_b64 vcc, exec, s[30:31]
	s_cbranch_vccnz .LBB62_13
.LBB62_24:                              ;   in Loop: Header=BB62_6 Depth=1
                                        ; implicit-def: $vgpr27
.LBB62_25:                              ;   in Loop: Header=BB62_6 Depth=1
	s_waitcnt vmcnt(0)
	v_mov_b32_e32 v26, 0
	v_mov_b32_e32 v27, 0
	s_and_saveexec_b64 s[38:39], s[0:1]
	s_cbranch_execz .LBB62_4
; %bb.26:                               ;   in Loop: Header=BB62_6 Depth=1
	v_mov_b32_e32 v27, s27
	v_add_co_u32_e32 v26, vcc, s26, v28
	v_addc_co_u32_e32 v27, vcc, 0, v27, vcc
	v_cmp_gt_i64_e32 vcc, s[16:17], v[26:27]
	v_mov_b32_e32 v27, 0
	v_mov_b32_e32 v26, 0
	s_and_saveexec_b64 s[40:41], vcc
	s_cbranch_execz .LBB62_3
; %bb.27:                               ;   in Loop: Header=BB62_6 Depth=1
	global_load_dwordx2 v[26:27], v[20:21], off
	s_branch .LBB62_3
.LBB62_28:
	ds_read_b32 v15, v30
.LBB62_29:
	s_load_dwordx4 s[0:3], s[6:7], 0x88
	s_load_dwordx2 s[4:5], s[6:7], 0x98
	s_waitcnt lgkmcnt(0)
	s_lshl_b64 s[0:1], s[0:1], 3
	s_add_u32 s6, s18, s0
	v_mul_lo_u32 v14, v7, s4
	v_mul_lo_u32 v16, v6, s5
	s_addc_u32 s7, s19, s1
	v_mad_u64_u32 v[6:7], s[0:1], v6, s4, 0
	v_add3_u32 v7, v7, v16, v14
	v_mul_lo_u32 v14, v5, s2
	v_mul_lo_u32 v16, v4, s3
	v_mad_u64_u32 v[4:5], s[0:1], v4, s2, 0
	v_lshlrev_b64 v[6:7], 3, v[6:7]
	v_add3_u32 v5, v5, v16, v14
	v_mov_b32_e32 v14, s7
	v_add_co_u32_e32 v6, vcc, s6, v6
	v_addc_co_u32_e32 v7, vcc, v14, v7, vcc
	v_lshlrev_b64 v[4:5], 3, v[4:5]
	v_add_co_u32_e32 v16, vcc, v6, v4
	v_lshl_or_b32 v6, v19, 4, v10
	v_addc_co_u32_e32 v17, vcc, v7, v5, vcc
	v_mbcnt_hi_u32_b32 v7, -1, v29
	v_and_b32_e32 v6, 63, v6
	v_and_or_b32 v6, v7, 64, v6
	v_lshlrev_b32_e32 v14, 2, v6
	v_mad_u64_u32 v[6:7], s[0:1], v10, s4, 0
	v_cmp_lt_u64_e32 vcc, v[10:11], v[8:9]
	v_mov_b32_e32 v8, v7
	v_mad_u64_u32 v[8:9], s[0:1], v10, s5, v[8:9]
	v_mov_b32_e32 v7, v8
	v_lshlrev_b64 v[8:9], 3, v[6:7]
	ds_bpermute_b32 v6, v14, v15
	ds_bpermute_b32 v7, v14, v26
	v_add_co_u32_e64 v10, s[0:1], v16, v8
	v_lshlrev_b32_e32 v4, 2, v28
	v_mov_b32_e32 v5, 0
	v_addc_co_u32_e64 v11, s[0:1], v17, v9, s[0:1]
	v_cmp_lt_u64_e64 s[0:1], v[4:5], v[2:3]
	s_and_b64 s[0:1], vcc, s[0:1]
	s_and_saveexec_b64 s[4:5], s[0:1]
	s_cbranch_execz .LBB62_31
; %bb.30:
	v_mad_u64_u32 v[8:9], s[0:1], v4, s2, 0
	v_mov_b32_e32 v16, v9
	v_mad_u64_u32 v[16:17], s[0:1], v4, s3, v[16:17]
	v_mov_b32_e32 v9, v16
	v_lshlrev_b64 v[8:9], 3, v[8:9]
	v_add_co_u32_e64 v8, s[0:1], v10, v8
	v_addc_co_u32_e64 v9, s[0:1], v11, v9, s[0:1]
	global_load_dwordx2 v[16:17], v[8:9], off
	s_waitcnt lgkmcnt(0)
	v_pk_mul_f32 v[18:19], s[14:15], v[6:7]
	v_mul_f32_e32 v7, s14, v7
	v_fmac_f32_e32 v7, s15, v6
	v_sub_f32_e32 v15, v18, v19
	s_waitcnt vmcnt(0)
	v_mul_f32_e32 v6, s13, v17
	v_mul_f32_e32 v17, s12, v17
	v_fma_f32 v6, s12, v16, -v6
	v_fmac_f32_e32 v17, s13, v16
	v_add_f32_e32 v6, v15, v6
	v_add_f32_e32 v7, v7, v17
	global_store_dwordx2 v[8:9], v[6:7], off
.LBB62_31:
	s_or_b64 exec, exec, s[4:5]
	s_waitcnt lgkmcnt(1)
	ds_bpermute_b32 v6, v14, v25
	s_waitcnt lgkmcnt(1)
	ds_bpermute_b32 v7, v14, v27
	v_or_b32_e32 v8, 1, v4
	v_mov_b32_e32 v9, v5
	v_cmp_lt_u64_e64 s[0:1], v[8:9], v[2:3]
	s_and_b64 s[0:1], vcc, s[0:1]
	s_and_saveexec_b64 s[4:5], s[0:1]
	s_cbranch_execz .LBB62_33
; %bb.32:
	v_mad_u64_u32 v[16:17], s[0:1], v8, s2, 0
	v_mov_b32_e32 v18, v17
	v_mad_u64_u32 v[8:9], s[0:1], v8, s3, v[18:19]
	v_mov_b32_e32 v17, v8
	v_lshlrev_b64 v[8:9], 3, v[16:17]
	v_add_co_u32_e64 v8, s[0:1], v10, v8
	v_addc_co_u32_e64 v9, s[0:1], v11, v9, s[0:1]
	global_load_dwordx2 v[16:17], v[8:9], off
	s_waitcnt lgkmcnt(1)
	v_mul_f32_e32 v15, s15, v6
	s_waitcnt lgkmcnt(0)
	v_pk_mul_f32 v[18:19], s[14:15], v[6:7]
	v_fmac_f32_e32 v15, s14, v7
	v_sub_f32_e32 v6, v18, v19
	s_waitcnt vmcnt(0)
	v_mul_f32_e32 v7, s13, v17
	v_mul_f32_e32 v17, s12, v17
	v_fma_f32 v7, s12, v16, -v7
	v_fmac_f32_e32 v17, s13, v16
	v_add_f32_e32 v6, v6, v7
	v_add_f32_e32 v7, v15, v17
	global_store_dwordx2 v[8:9], v[6:7], off
.LBB62_33:
	s_or_b64 exec, exec, s[4:5]
	s_waitcnt lgkmcnt(1)
	ds_bpermute_b32 v6, v14, v12
	s_waitcnt lgkmcnt(1)
	ds_bpermute_b32 v7, v14, v0
	v_or_b32_e32 v8, 2, v4
	v_mov_b32_e32 v9, v5
	v_cmp_lt_u64_e64 s[0:1], v[8:9], v[2:3]
	s_and_b64 s[0:1], vcc, s[0:1]
	s_and_saveexec_b64 s[4:5], s[0:1]
	s_cbranch_execz .LBB62_35
; %bb.34:
	v_mad_u64_u32 v[16:17], s[0:1], v8, s2, 0
	v_mov_b32_e32 v0, v17
	v_mad_u64_u32 v[8:9], s[0:1], v8, s3, v[0:1]
	v_mov_b32_e32 v17, v8
	v_lshlrev_b64 v[8:9], 3, v[16:17]
	v_add_co_u32_e64 v8, s[0:1], v10, v8
	v_addc_co_u32_e64 v9, s[0:1], v11, v9, s[0:1]
	global_load_dwordx2 v[16:17], v[8:9], off
	s_waitcnt lgkmcnt(1)
	v_mul_f32_e32 v0, s15, v6
	s_waitcnt lgkmcnt(0)
	v_pk_mul_f32 v[18:19], s[14:15], v[6:7]
	v_fmac_f32_e32 v0, s14, v7
	v_sub_f32_e32 v6, v18, v19
	s_waitcnt vmcnt(0)
	v_mul_f32_e32 v7, s13, v17
	v_mul_f32_e32 v12, s12, v17
	v_fma_f32 v7, s12, v16, -v7
	v_fmac_f32_e32 v12, s13, v16
	v_add_f32_e32 v6, v6, v7
	v_add_f32_e32 v7, v0, v12
	global_store_dwordx2 v[8:9], v[6:7], off
.LBB62_35:
	s_or_b64 exec, exec, s[4:5]
	ds_bpermute_b32 v0, v14, v13
	ds_bpermute_b32 v1, v14, v1
	v_or_b32_e32 v4, 3, v4
	v_cmp_lt_u64_e64 s[0:1], v[4:5], v[2:3]
	s_and_b64 s[0:1], vcc, s[0:1]
	s_and_b64 exec, exec, s[0:1]
	s_cbranch_execz .LBB62_37
; %bb.36:
	v_mad_u64_u32 v[2:3], s[0:1], v4, s2, 0
	s_waitcnt lgkmcnt(3)
	v_mov_b32_e32 v6, v3
	s_waitcnt lgkmcnt(2)
	v_mad_u64_u32 v[4:5], s[0:1], v4, s3, v[6:7]
	v_mov_b32_e32 v3, v4
	v_lshlrev_b64 v[2:3], 3, v[2:3]
	v_add_co_u32_e32 v2, vcc, v10, v2
	v_addc_co_u32_e32 v3, vcc, v11, v3, vcc
	global_load_dwordx2 v[4:5], v[2:3], off
	s_waitcnt lgkmcnt(0)
	v_pk_mul_f32 v[6:7], s[14:15], v[0:1]
	v_mov_b32_e32 v6, v1
	s_mov_b32 s0, s15
	v_mov_b32_e32 v8, v7
	v_pk_mul_f32 v[6:7], s[14:15], v[6:7] op_sel_hi:[1,0]
	v_pk_fma_f32 v[8:9], s[14:15], v[0:1], v[8:9] neg_lo:[0,0,1] neg_hi:[0,0,1]
	v_pk_fma_f32 v[0:1], s[0:1], v[0:1], v[6:7]
	s_mov_b32 s2, s13
	s_waitcnt vmcnt(0)
	v_pk_mul_f32 v[6:7], s[12:13], v[4:5]
	v_mov_b32_e32 v6, v5
	v_mov_b32_e32 v10, v7
	v_pk_mul_f32 v[6:7], s[12:13], v[6:7]
	v_pk_fma_f32 v[10:11], s[12:13], v[4:5], v[10:11] neg_lo:[0,0,1] neg_hi:[0,0,1]
	v_pk_fma_f32 v[4:5], s[2:3], v[4:5], v[6:7]
	v_pk_add_f32 v[6:7], v[8:9], v[10:11]
	v_pk_add_f32 v[0:1], v[0:1], v[4:5]
	v_mov_b32_e32 v7, v0
	global_store_dwordx2 v[2:3], v[6:7], off
.LBB62_37:
	s_endpgm
	.section	.rodata,"a",@progbits
	.p2align	6, 0x0
	.amdhsa_kernel _ZN9rocsolver6v33100L16mfma_gemm_kernelI19rocblas_complex_numIfElPKS3_PS3_S6_PKS6_EEv18rocblas_operation_S9_T0_SA_SA_T1_T2_lSA_SA_lT3_lSA_SA_lSB_T4_lSA_SA_l
		.amdhsa_group_segment_fixed_size 20480
		.amdhsa_private_segment_fixed_size 0
		.amdhsa_kernarg_size 424
		.amdhsa_user_sgpr_count 8
		.amdhsa_user_sgpr_private_segment_buffer 1
		.amdhsa_user_sgpr_dispatch_ptr 1
		.amdhsa_user_sgpr_queue_ptr 0
		.amdhsa_user_sgpr_kernarg_segment_ptr 1
		.amdhsa_user_sgpr_dispatch_id 0
		.amdhsa_user_sgpr_flat_scratch_init 0
		.amdhsa_user_sgpr_kernarg_preload_length 0
		.amdhsa_user_sgpr_kernarg_preload_offset 0
		.amdhsa_user_sgpr_private_segment_size 0
		.amdhsa_uses_dynamic_stack 0
		.amdhsa_system_sgpr_private_segment_wavefront_offset 0
		.amdhsa_system_sgpr_workgroup_id_x 1
		.amdhsa_system_sgpr_workgroup_id_y 1
		.amdhsa_system_sgpr_workgroup_id_z 1
		.amdhsa_system_sgpr_workgroup_info 0
		.amdhsa_system_vgpr_workitem_id 2
		.amdhsa_next_free_vgpr 51
		.amdhsa_next_free_sgpr 54
		.amdhsa_accum_offset 52
		.amdhsa_reserve_vcc 1
		.amdhsa_reserve_flat_scratch 0
		.amdhsa_float_round_mode_32 0
		.amdhsa_float_round_mode_16_64 0
		.amdhsa_float_denorm_mode_32 3
		.amdhsa_float_denorm_mode_16_64 3
		.amdhsa_dx10_clamp 1
		.amdhsa_ieee_mode 1
		.amdhsa_fp16_overflow 0
		.amdhsa_tg_split 0
		.amdhsa_exception_fp_ieee_invalid_op 0
		.amdhsa_exception_fp_denorm_src 0
		.amdhsa_exception_fp_ieee_div_zero 0
		.amdhsa_exception_fp_ieee_overflow 0
		.amdhsa_exception_fp_ieee_underflow 0
		.amdhsa_exception_fp_ieee_inexact 0
		.amdhsa_exception_int_div_zero 0
	.end_amdhsa_kernel
	.section	.text._ZN9rocsolver6v33100L16mfma_gemm_kernelI19rocblas_complex_numIfElPKS3_PS3_S6_PKS6_EEv18rocblas_operation_S9_T0_SA_SA_T1_T2_lSA_SA_lT3_lSA_SA_lSB_T4_lSA_SA_l,"axG",@progbits,_ZN9rocsolver6v33100L16mfma_gemm_kernelI19rocblas_complex_numIfElPKS3_PS3_S6_PKS6_EEv18rocblas_operation_S9_T0_SA_SA_T1_T2_lSA_SA_lT3_lSA_SA_lSB_T4_lSA_SA_l,comdat
.Lfunc_end62:
	.size	_ZN9rocsolver6v33100L16mfma_gemm_kernelI19rocblas_complex_numIfElPKS3_PS3_S6_PKS6_EEv18rocblas_operation_S9_T0_SA_SA_T1_T2_lSA_SA_lT3_lSA_SA_lSB_T4_lSA_SA_l, .Lfunc_end62-_ZN9rocsolver6v33100L16mfma_gemm_kernelI19rocblas_complex_numIfElPKS3_PS3_S6_PKS6_EEv18rocblas_operation_S9_T0_SA_SA_T1_T2_lSA_SA_lT3_lSA_SA_lSB_T4_lSA_SA_l
                                        ; -- End function
	.section	.AMDGPU.csdata,"",@progbits
; Kernel info:
; codeLenInByte = 2716
; NumSgprs: 58
; NumVgprs: 51
; NumAgprs: 0
; TotalNumVgprs: 51
; ScratchSize: 0
; MemoryBound: 0
; FloatMode: 240
; IeeeMode: 1
; LDSByteSize: 20480 bytes/workgroup (compile time only)
; SGPRBlocks: 7
; VGPRBlocks: 6
; NumSGPRsForWavesPerEU: 58
; NumVGPRsForWavesPerEU: 51
; AccumOffset: 52
; Occupancy: 8
; WaveLimiterHint : 1
; COMPUTE_PGM_RSRC2:SCRATCH_EN: 0
; COMPUTE_PGM_RSRC2:USER_SGPR: 8
; COMPUTE_PGM_RSRC2:TRAP_HANDLER: 0
; COMPUTE_PGM_RSRC2:TGID_X_EN: 1
; COMPUTE_PGM_RSRC2:TGID_Y_EN: 1
; COMPUTE_PGM_RSRC2:TGID_Z_EN: 1
; COMPUTE_PGM_RSRC2:TIDIG_COMP_CNT: 2
; COMPUTE_PGM_RSRC3_GFX90A:ACCUM_OFFSET: 12
; COMPUTE_PGM_RSRC3_GFX90A:TG_SPLIT: 0
	.section	.text._ZN9rocsolver6v33100L16mfma_gemm_kernelI19rocblas_complex_numIfElS3_PS3_S4_PKS4_EEv18rocblas_operation_S7_T0_S8_S8_T1_T2_lS8_S8_lT3_lS8_S8_lS9_T4_lS8_S8_l,"axG",@progbits,_ZN9rocsolver6v33100L16mfma_gemm_kernelI19rocblas_complex_numIfElS3_PS3_S4_PKS4_EEv18rocblas_operation_S7_T0_S8_S8_T1_T2_lS8_S8_lT3_lS8_S8_lS9_T4_lS8_S8_l,comdat
	.globl	_ZN9rocsolver6v33100L16mfma_gemm_kernelI19rocblas_complex_numIfElS3_PS3_S4_PKS4_EEv18rocblas_operation_S7_T0_S8_S8_T1_T2_lS8_S8_lT3_lS8_S8_lS9_T4_lS8_S8_l ; -- Begin function _ZN9rocsolver6v33100L16mfma_gemm_kernelI19rocblas_complex_numIfElS3_PS3_S4_PKS4_EEv18rocblas_operation_S7_T0_S8_S8_T1_T2_lS8_S8_lT3_lS8_S8_lS9_T4_lS8_S8_l
	.p2align	8
	.type	_ZN9rocsolver6v33100L16mfma_gemm_kernelI19rocblas_complex_numIfElS3_PS3_S4_PKS4_EEv18rocblas_operation_S7_T0_S8_S8_T1_T2_lS8_S8_lT3_lS8_S8_lS9_T4_lS8_S8_l,@function
_ZN9rocsolver6v33100L16mfma_gemm_kernelI19rocblas_complex_numIfElS3_PS3_S4_PKS4_EEv18rocblas_operation_S7_T0_S8_S8_T1_T2_lS8_S8_lT3_lS8_S8_lS9_T4_lS8_S8_l: ; @_ZN9rocsolver6v33100L16mfma_gemm_kernelI19rocblas_complex_numIfElS3_PS3_S4_PKS4_EEv18rocblas_operation_S7_T0_S8_S8_T1_T2_lS8_S8_lT3_lS8_S8_lS9_T4_lS8_S8_l
; %bb.0:
	s_load_dword s0, s[6:7], 0xb4
	s_load_dwordx4 s[12:15], s[6:7], 0x8
	v_and_b32_e32 v1, 0x3ff, v0
	v_lshrrev_b32_e32 v2, 6, v1
	v_mov_b32_e32 v3, 0
	s_waitcnt lgkmcnt(0)
	s_lshr_b32 s2, s0, 16
	s_bfe_u32 s0, s0, 0xa0006
	v_mov_b32_e32 v4, s8
	v_bfe_u32 v8, v0, 10, 10
	v_mov_b32_e32 v9, v3
	v_mad_u64_u32 v[16:17], s[0:1], s0, v4, v[2:3]
	v_mov_b32_e32 v2, s9
	v_mad_u64_u32 v[20:21], s[0:1], s2, v2, v[8:9]
	v_lshlrev_b64 v[4:5], 4, v[16:17]
	v_lshlrev_b64 v[6:7], 4, v[20:21]
	v_cmp_gt_i64_e32 vcc, s[12:13], v[4:5]
	v_cmp_gt_i64_e64 s[0:1], s[14:15], v[6:7]
	s_mov_b32 s11, 0
	s_and_b64 s[0:1], vcc, s[0:1]
	s_and_saveexec_b64 s[2:3], s[0:1]
	s_cbranch_execz .LBB63_37
; %bb.1:
	s_load_dwordx2 s[0:1], s[4:5], 0x4
	s_load_dwordx8 s[36:43], s[6:7], 0x80
	v_bfe_u32 v0, v0, 20, 10
	s_load_dwordx4 s[28:31], s[6:7], 0x18
	s_load_dwordx2 s[8:9], s[6:7], 0x78
	v_bfe_u32 v10, v1, 2, 4
	s_waitcnt lgkmcnt(0)
	s_lshr_b32 s0, s0, 16
	s_mul_i32 s0, s0, s1
	v_mul_u32_u24_e32 v2, s1, v8
	v_mul_lo_u32 v8, s0, v1
	v_add3_u32 v0, v8, v2, v0
	v_add_co_u32_e32 v8, vcc, 16, v4
	v_addc_co_u32_e32 v9, vcc, 0, v5, vcc
	s_and_b32 s0, s12, 15
	v_mul_lo_u32 v30, v0, 20
	v_mov_b32_e32 v0, s0
	v_cmp_lt_u64_e32 vcc, s[12:13], v[8:9]
	s_and_b32 s0, s14, 15
	v_cndmask_b32_e32 v2, 16, v0, vcc
	v_mov_b32_e32 v0, s0
	s_lshl_b64 s[0:1], s[10:11], 3
	s_add_u32 s0, s36, s0
	s_addc_u32 s1, s37, s1
	v_add_co_u32_e32 v8, vcc, 16, v6
	s_load_dwordx2 s[34:35], s[0:1], 0x0
	v_addc_co_u32_e32 v9, vcc, 0, v7, vcc
	v_cmp_lt_u64_e32 vcc, s[14:15], v[8:9]
	v_cndmask_b32_e32 v8, 16, v0, vcc
	v_mov_b32_e32 v9, v3
	v_mov_b32_e32 v11, v3
	v_cmp_lt_i64_e64 s[0:1], s[28:29], 1
	v_and_b32_e32 v19, 63, v1
	v_and_b32_e32 v28, 3, v1
	s_and_b64 vcc, exec, s[0:1]
	v_cmp_lt_u64_e64 s[0:1], v[10:11], v[8:9]
	v_mbcnt_lo_u32_b32 v29, -1, 0
	v_mov_b32_e32 v13, v3
	v_mov_b32_e32 v0, v3
	;; [unrolled: 1-line block ×8, first 2 shown]
	ds_write2_b32 v30, v3, v3 offset0:2 offset1:3
	ds_write2_b32 v30, v3, v3 offset1:1
	ds_write_b32 v30, v3 offset:16
	s_cbranch_vccnz .LBB63_29
; %bb.2:
	s_load_dwordx2 s[52:53], s[6:7], 0x0
	s_load_dwordx16 s[12:27], s[6:7], 0x28
	s_load_dwordx4 s[44:47], s[6:7], 0x68
	v_lshrrev_b32_e32 v14, 4, v19
	v_and_b32_e32 v0, 15, v19
	s_waitcnt lgkmcnt(0)
	s_cmpk_lg_i32 s52, 0x6f
	s_cselect_b64 s[36:37], -1, 0
	s_cmpk_lg_i32 s53, 0x6f
	s_cselect_b64 s[48:49], -1, 0
	s_cmpk_eq_i32 s53, 0x6f
	s_cselect_b32 s11, s44, s26
	s_cselect_b32 s33, s45, s27
	s_cmpk_eq_i32 s52, 0x6f
	s_cselect_b32 s54, s16, s18
	s_cselect_b32 s55, s17, s19
	v_mul_lo_u32 v15, s55, v16
	v_mul_lo_u32 v17, s54, v17
	v_mad_u64_u32 v[12:13], s[54:55], s54, v16, 0
	v_add3_u32 v13, v13, v17, v15
	v_mad_u64_u32 v[16:17], s[54:55], s18, v14, 0
	v_mov_b32_e32 v18, v17
	v_mad_u64_u32 v[22:23], s[54:55], s19, v14, v[18:19]
	s_cmpk_eq_i32 s52, 0x71
	v_mov_b32_e32 v17, v22
	s_cselect_b64 s[50:51], -1, 0
	s_cmpk_eq_i32 s53, 0x71
	v_lshlrev_b64 v[12:13], 7, v[12:13]
	v_lshlrev_b64 v[16:17], 3, v[16:17]
	s_mul_i32 s21, s21, s10
	s_mul_hi_u32 s54, s20, s10
	s_cselect_b64 s[52:53], -1, 0
	v_add_co_u32_e32 v15, vcc, v12, v16
	s_add_i32 s21, s54, s21
	s_mul_i32 s20, s20, s10
	v_addc_co_u32_e32 v16, vcc, v13, v17, vcc
	s_lshl_b64 s[54:55], s[20:21], 3
	v_mov_b32_e32 v27, s55
	v_add_co_u32_e32 v15, vcc, s54, v15
	v_addc_co_u32_e32 v24, vcc, v16, v27, vcc
	v_mad_u64_u32 v[16:17], s[20:21], s16, v0, 0
	v_mov_b32_e32 v18, v17
	v_mad_u64_u32 v[22:23], s[20:21], s17, v0, v[18:19]
	v_mov_b32_e32 v17, v22
	v_lshlrev_b64 v[16:17], 3, v[16:17]
	v_add_co_u32_e32 v15, vcc, v15, v16
	v_addc_co_u32_e32 v17, vcc, v24, v17, vcc
	v_mov_b32_e32 v18, s13
	v_add_co_u32_e32 v16, vcc, s12, v15
	v_mad_u64_u32 v[22:23], s[56:57], s18, v10, 0
	v_addc_co_u32_e32 v15, vcc, v18, v17, vcc
	v_mov_b32_e32 v18, v23
	s_lshl_b64 s[20:21], s[18:19], 5
	v_mad_u64_u32 v[24:25], s[18:19], s19, v10, v[18:19]
	v_mov_b32_e32 v23, v24
	v_lshlrev_b64 v[22:23], 3, v[22:23]
	v_add_co_u32_e32 v12, vcc, v12, v22
	v_addc_co_u32_e32 v13, vcc, v13, v23, vcc
	v_add_co_u32_e32 v17, vcc, s54, v12
	v_addc_co_u32_e32 v24, vcc, v13, v27, vcc
	v_mad_u64_u32 v[12:13], s[18:19], s16, v28, 0
	v_mov_b32_e32 v18, v13
	v_mad_u64_u32 v[22:23], s[18:19], s17, v28, v[18:19]
	v_mov_b32_e32 v13, v22
	v_lshlrev_b64 v[12:13], 3, v[12:13]
	v_add_co_u32_e32 v12, vcc, v17, v12
	v_addc_co_u32_e32 v13, vcc, v24, v13, vcc
	v_mov_b32_e32 v17, s13
	v_add_co_u32_e32 v18, vcc, s12, v12
	v_addc_co_u32_e32 v17, vcc, v17, v13, vcc
	s_lshl_b64 s[12:13], s[16:17], 5
	v_mul_lo_u32 v22, s33, v20
	v_mul_lo_u32 v21, s11, v21
	v_mad_u64_u32 v[12:13], s[16:17], s11, v20, 0
	v_add3_u32 v13, v13, v21, v22
	v_mad_u64_u32 v[20:21], s[16:17], s44, v10, 0
	v_mov_b32_e32 v22, v21
	v_mad_u64_u32 v[22:23], s[16:17], s45, v10, v[22:23]
	v_mov_b32_e32 v21, v22
	v_lshlrev_b64 v[12:13], 7, v[12:13]
	v_lshlrev_b64 v[20:21], 3, v[20:21]
	s_mul_i32 s11, s47, s10
	s_mul_hi_u32 s16, s46, s10
	v_add_co_u32_e32 v20, vcc, v12, v20
	s_add_i32 s11, s16, s11
	s_mul_i32 s10, s46, s10
	v_addc_co_u32_e32 v21, vcc, v13, v21, vcc
	s_lshl_b64 s[16:17], s[10:11], 3
	v_mov_b32_e32 v27, s17
	v_add_co_u32_e32 v24, vcc, s16, v20
	v_addc_co_u32_e32 v25, vcc, v21, v27, vcc
	v_mad_u64_u32 v[20:21], s[10:11], s26, v28, 0
	v_mov_b32_e32 v22, v21
	v_mad_u64_u32 v[22:23], s[10:11], s27, v28, v[22:23]
	v_mov_b32_e32 v21, v22
	s_lshl_b64 s[14:15], s[14:15], 3
	v_lshlrev_b64 v[20:21], 3, v[20:21]
	s_lshl_b64 s[10:11], s[24:25], 3
	v_add_co_u32_e32 v20, vcc, v24, v20
	s_add_u32 s22, s22, s10
	v_addc_co_u32_e32 v21, vcc, v25, v21, vcc
	s_addc_u32 s23, s23, s11
	v_mov_b32_e32 v22, s23
	v_add_co_u32_e32 v20, vcc, s22, v20
	v_addc_co_u32_e32 v21, vcc, v22, v21, vcc
	v_mad_u64_u32 v[22:23], s[18:19], s44, v14, 0
	v_mov_b32_e32 v24, v23
	v_mad_u64_u32 v[24:25], s[18:19], s45, v14, v[24:25]
	v_mov_b32_e32 v23, v24
	v_lshlrev_b64 v[22:23], 3, v[22:23]
	v_add_co_u32_e32 v12, vcc, v12, v22
	v_addc_co_u32_e32 v13, vcc, v13, v23, vcc
	v_add_co_u32_e32 v24, vcc, s16, v12
	v_addc_co_u32_e32 v25, vcc, v13, v27, vcc
	v_mad_u64_u32 v[12:13], s[16:17], s26, v0, 0
	v_mov_b32_e32 v22, v13
	v_mad_u64_u32 v[22:23], s[16:17], s27, v0, v[22:23]
	v_mov_b32_e32 v13, v22
	v_mov_b32_e32 v1, 0
	v_lshlrev_b64 v[12:13], 3, v[12:13]
	v_lshl_or_b32 v26, v0, 2, v14
	v_cmp_lt_u64_e64 s[4:5], v[0:1], v[2:3]
	v_cmp_lt_u64_e64 s[6:7], v[0:1], v[8:9]
	v_add_co_u32_e32 v0, vcc, v24, v12
	v_addc_co_u32_e32 v12, vcc, v25, v13, vcc
	v_add_co_u32_e32 v22, vcc, s22, v0
	v_mbcnt_hi_u32_b32 v0, -1, v29
	v_mov_b32_e32 v13, s23
	v_and_or_b32 v0, v0, 64, v26
	v_cmp_lt_u64_e64 s[2:3], v[10:11], v[2:3]
	s_lshl_b64 s[10:11], s[26:27], 5
	v_addc_co_u32_e32 v23, vcc, v13, v12, vcc
	s_lshl_b64 s[16:17], s[44:45], 5
	s_mov_b64 s[18:19], 0
	v_lshlrev_b32_e32 v31, 2, v0
	v_mov_b32_e32 v12, v1
	v_mov_b32_e32 v0, v1
	;; [unrolled: 1-line block ×3, first 2 shown]
	s_branch .LBB63_6
.LBB63_3:                               ;   in Loop: Header=BB63_6 Depth=1
	s_or_b64 exec, exec, s[24:25]
.LBB63_4:                               ;   in Loop: Header=BB63_6 Depth=1
	s_or_b64 exec, exec, s[22:23]
	s_waitcnt vmcnt(0)
	ds_bpermute_b32 v26, v31, v26
	ds_bpermute_b32 v27, v31, v27
.LBB63_5:                               ;   in Loop: Header=BB63_6 Depth=1
	s_waitcnt vmcnt(0) lgkmcnt(0)
	v_cndmask_b32_e64 v50, v25, -v25, s[50:51]
	v_cndmask_b32_e64 v27, v27, -v27, s[52:53]
	v_mfma_f32_16x16x4f32 v[32:35], v24, v26, 0
	v_add_co_u32_e32 v16, vcc, s20, v16
	s_add_u32 s18, s18, 4
	s_addc_u32 s19, s19, 0
	v_mfma_f32_16x16x4f32 v[40:43], v50, v27, 0
	v_mfma_f32_16x16x4f32 v[36:39], v24, v27, 0
	ds_read2_b32 v[24:25], v30 offset1:1
	ds_read2_b32 v[44:45], v30 offset0:3 offset1:4
	ds_read2_b32 v[46:47], v30 offset0:2 offset1:3
	;; [unrolled: 1-line block ×3, first 2 shown]
	s_nop 5
	v_sub_f32_e32 v35, v35, v43
	v_sub_f32_e32 v34, v34, v42
	v_sub_f32_e32 v33, v33, v41
	v_sub_f32_e32 v32, v32, v40
	s_waitcnt lgkmcnt(1)
	v_mov_b32_e32 v25, v46
	v_pk_add_f32 v[24:25], v[24:25], v[32:33]
	v_pk_add_f32 v[12:13], v[12:13], v[34:35]
	v_mfma_f32_16x16x4f32 v[32:35], v50, v26, 0
	s_waitcnt lgkmcnt(0)
	v_mov_b32_e32 v49, v44
	s_nop 7
	s_nop 0
	v_pk_add_f32 v[26:27], v[38:39], v[34:35]
	v_pk_add_f32 v[32:33], v[36:37], v[32:33]
	;; [unrolled: 1-line block ×4, first 2 shown]
	ds_write2_b32 v30, v24, v26 offset1:1
	ds_write2_b32 v30, v25, v27 offset0:2 offset1:3
	ds_write_b32 v30, v12 offset:16
	v_mov_b32_e32 v24, s21
	v_addc_co_u32_e32 v15, vcc, v15, v24, vcc
	v_mov_b32_e32 v24, s13
	v_add_co_u32_e32 v18, vcc, s12, v18
	v_addc_co_u32_e32 v17, vcc, v17, v24, vcc
	v_mov_b32_e32 v24, s11
	v_add_co_u32_e32 v20, vcc, s10, v20
	;; [unrolled: 3-line block ×3, first 2 shown]
	v_addc_co_u32_e32 v23, vcc, v23, v24, vcc
	v_pk_mov_b32 v[32:33], s[28:29], s[28:29] op_sel:[0,1]
	v_cmp_ge_i64_e32 vcc, s[18:19], v[32:33]
	s_cbranch_vccnz .LBB63_28
.LBB63_6:                               ; =>This Inner Loop Header: Depth=1
	s_and_b64 vcc, exec, s[36:37]
	s_cbranch_vccz .LBB63_18
; %bb.7:                                ;   in Loop: Header=BB63_6 Depth=1
	v_mov_b32_e32 v24, 0
	v_mov_b32_e32 v25, 0
	s_and_saveexec_b64 s[22:23], s[2:3]
	s_cbranch_execz .LBB63_11
; %bb.8:                                ;   in Loop: Header=BB63_6 Depth=1
	v_mov_b32_e32 v25, s19
	v_add_co_u32_e32 v24, vcc, s18, v28
	v_addc_co_u32_e32 v25, vcc, 0, v25, vcc
	v_cmp_gt_i64_e32 vcc, s[28:29], v[24:25]
	v_mov_b32_e32 v25, 0
	v_mov_b32_e32 v24, 0
	s_and_saveexec_b64 s[24:25], vcc
	s_cbranch_execz .LBB63_10
; %bb.9:                                ;   in Loop: Header=BB63_6 Depth=1
	v_mov_b32_e32 v25, s15
	v_add_co_u32_e32 v24, vcc, s14, v18
	v_addc_co_u32_e32 v25, vcc, v17, v25, vcc
	global_load_dwordx2 v[24:25], v[24:25], off
.LBB63_10:                              ;   in Loop: Header=BB63_6 Depth=1
	s_or_b64 exec, exec, s[24:25]
.LBB63_11:                              ;   in Loop: Header=BB63_6 Depth=1
	s_or_b64 exec, exec, s[22:23]
	s_waitcnt vmcnt(0)
	ds_bpermute_b32 v24, v31, v24
	ds_bpermute_b32 v25, v31, v25
.LBB63_12:                              ;   in Loop: Header=BB63_6 Depth=1
	s_and_b64 vcc, exec, s[48:49]
	s_cbranch_vccz .LBB63_24
.LBB63_13:                              ;   in Loop: Header=BB63_6 Depth=1
	v_mov_b32_e32 v27, 0
	v_mov_b32_e32 v26, 0
	s_and_saveexec_b64 s[22:23], s[6:7]
	s_cbranch_execz .LBB63_17
; %bb.14:                               ;   in Loop: Header=BB63_6 Depth=1
	v_mov_b32_e32 v27, s19
	v_add_co_u32_e32 v26, vcc, s18, v14
	v_addc_co_u32_e32 v27, vcc, 0, v27, vcc
	v_cmp_gt_i64_e32 vcc, s[28:29], v[26:27]
	v_mov_b32_e32 v27, 0
	v_mov_b32_e32 v26, 0
	s_and_saveexec_b64 s[24:25], vcc
	s_cbranch_execz .LBB63_16
; %bb.15:                               ;   in Loop: Header=BB63_6 Depth=1
	global_load_dwordx2 v[26:27], v[22:23], off
.LBB63_16:                              ;   in Loop: Header=BB63_6 Depth=1
	s_or_b64 exec, exec, s[24:25]
.LBB63_17:                              ;   in Loop: Header=BB63_6 Depth=1
	s_or_b64 exec, exec, s[22:23]
	s_cbranch_execnz .LBB63_5
	s_branch .LBB63_25
.LBB63_18:                              ;   in Loop: Header=BB63_6 Depth=1
                                        ; implicit-def: $vgpr25
	s_cbranch_execz .LBB63_12
; %bb.19:                               ;   in Loop: Header=BB63_6 Depth=1
	s_waitcnt lgkmcnt(0)
	v_mov_b32_e32 v25, 0
	v_mov_b32_e32 v24, 0
	s_and_saveexec_b64 s[22:23], s[4:5]
	s_cbranch_execz .LBB63_23
; %bb.20:                               ;   in Loop: Header=BB63_6 Depth=1
	v_mov_b32_e32 v25, s19
	v_add_co_u32_e32 v24, vcc, s18, v14
	v_addc_co_u32_e32 v25, vcc, 0, v25, vcc
	v_cmp_gt_i64_e32 vcc, s[28:29], v[24:25]
	v_mov_b32_e32 v25, 0
	v_mov_b32_e32 v24, 0
	s_and_saveexec_b64 s[24:25], vcc
	s_cbranch_execz .LBB63_22
; %bb.21:                               ;   in Loop: Header=BB63_6 Depth=1
	v_mov_b32_e32 v25, s15
	v_add_co_u32_e32 v24, vcc, s14, v16
	v_addc_co_u32_e32 v25, vcc, v15, v25, vcc
	global_load_dwordx2 v[24:25], v[24:25], off
.LBB63_22:                              ;   in Loop: Header=BB63_6 Depth=1
	s_or_b64 exec, exec, s[24:25]
.LBB63_23:                              ;   in Loop: Header=BB63_6 Depth=1
	s_or_b64 exec, exec, s[22:23]
	s_and_b64 vcc, exec, s[48:49]
	s_cbranch_vccnz .LBB63_13
.LBB63_24:                              ;   in Loop: Header=BB63_6 Depth=1
                                        ; implicit-def: $vgpr27
.LBB63_25:                              ;   in Loop: Header=BB63_6 Depth=1
	s_waitcnt vmcnt(0)
	v_mov_b32_e32 v26, 0
	v_mov_b32_e32 v27, 0
	s_and_saveexec_b64 s[22:23], s[0:1]
	s_cbranch_execz .LBB63_4
; %bb.26:                               ;   in Loop: Header=BB63_6 Depth=1
	v_mov_b32_e32 v27, s19
	v_add_co_u32_e32 v26, vcc, s18, v28
	v_addc_co_u32_e32 v27, vcc, 0, v27, vcc
	v_cmp_gt_i64_e32 vcc, s[28:29], v[26:27]
	v_mov_b32_e32 v27, 0
	v_mov_b32_e32 v26, 0
	s_and_saveexec_b64 s[24:25], vcc
	s_cbranch_execz .LBB63_3
; %bb.27:                               ;   in Loop: Header=BB63_6 Depth=1
	global_load_dwordx2 v[26:27], v[20:21], off
	s_branch .LBB63_3
.LBB63_28:
	ds_read_b32 v15, v30
.LBB63_29:
	s_lshl_b64 s[0:1], s[38:39], 3
	s_waitcnt lgkmcnt(0)
	s_add_u32 s2, s34, s0
	s_addc_u32 s3, s35, s1
	v_mul_lo_u32 v14, v7, s42
	v_mul_lo_u32 v16, v6, s43
	v_mad_u64_u32 v[6:7], s[0:1], v6, s42, 0
	v_add3_u32 v7, v7, v16, v14
	v_mul_lo_u32 v14, v5, s40
	v_mul_lo_u32 v16, v4, s41
	v_mad_u64_u32 v[4:5], s[0:1], v4, s40, 0
	v_lshlrev_b64 v[6:7], 3, v[6:7]
	v_add3_u32 v5, v5, v16, v14
	v_mov_b32_e32 v14, s3
	v_add_co_u32_e32 v6, vcc, s2, v6
	v_addc_co_u32_e32 v7, vcc, v14, v7, vcc
	v_lshlrev_b64 v[4:5], 3, v[4:5]
	v_add_co_u32_e32 v16, vcc, v6, v4
	v_lshl_or_b32 v6, v19, 4, v10
	v_addc_co_u32_e32 v17, vcc, v7, v5, vcc
	v_mbcnt_hi_u32_b32 v7, -1, v29
	v_and_b32_e32 v6, 63, v6
	v_and_or_b32 v6, v7, 64, v6
	v_lshlrev_b32_e32 v14, 2, v6
	v_mad_u64_u32 v[6:7], s[0:1], v10, s42, 0
	v_cmp_lt_u64_e32 vcc, v[10:11], v[8:9]
	v_mov_b32_e32 v8, v7
	v_mad_u64_u32 v[8:9], s[0:1], v10, s43, v[8:9]
	v_mov_b32_e32 v7, v8
	v_lshlrev_b64 v[8:9], 3, v[6:7]
	ds_bpermute_b32 v6, v14, v15
	ds_bpermute_b32 v7, v14, v26
	v_add_co_u32_e64 v10, s[0:1], v16, v8
	v_lshlrev_b32_e32 v4, 2, v28
	v_mov_b32_e32 v5, 0
	v_addc_co_u32_e64 v11, s[0:1], v17, v9, s[0:1]
	v_cmp_lt_u64_e64 s[0:1], v[4:5], v[2:3]
	s_and_b64 s[0:1], vcc, s[0:1]
	s_and_saveexec_b64 s[2:3], s[0:1]
	s_cbranch_execz .LBB63_31
; %bb.30:
	v_mad_u64_u32 v[8:9], s[0:1], v4, s40, 0
	v_mov_b32_e32 v16, v9
	v_mad_u64_u32 v[16:17], s[0:1], v4, s41, v[16:17]
	v_mov_b32_e32 v9, v16
	v_lshlrev_b64 v[8:9], 3, v[8:9]
	v_add_co_u32_e64 v8, s[0:1], v10, v8
	v_addc_co_u32_e64 v9, s[0:1], v11, v9, s[0:1]
	global_load_dwordx2 v[16:17], v[8:9], off
	s_waitcnt lgkmcnt(0)
	v_pk_mul_f32 v[18:19], s[30:31], v[6:7]
	v_mul_f32_e32 v7, s30, v7
	v_fmac_f32_e32 v7, s31, v6
	v_sub_f32_e32 v15, v18, v19
	s_waitcnt vmcnt(0)
	v_mul_f32_e32 v6, s9, v17
	v_mul_f32_e32 v17, s8, v17
	v_fma_f32 v6, s8, v16, -v6
	v_fmac_f32_e32 v17, s9, v16
	v_add_f32_e32 v6, v15, v6
	v_add_f32_e32 v7, v7, v17
	global_store_dwordx2 v[8:9], v[6:7], off
.LBB63_31:
	s_or_b64 exec, exec, s[2:3]
	s_waitcnt lgkmcnt(1)
	ds_bpermute_b32 v6, v14, v25
	s_waitcnt lgkmcnt(1)
	ds_bpermute_b32 v7, v14, v27
	v_or_b32_e32 v8, 1, v4
	v_mov_b32_e32 v9, v5
	v_cmp_lt_u64_e64 s[0:1], v[8:9], v[2:3]
	s_and_b64 s[0:1], vcc, s[0:1]
	s_and_saveexec_b64 s[2:3], s[0:1]
	s_cbranch_execz .LBB63_33
; %bb.32:
	v_mad_u64_u32 v[16:17], s[0:1], v8, s40, 0
	v_mov_b32_e32 v18, v17
	v_mad_u64_u32 v[8:9], s[0:1], v8, s41, v[18:19]
	v_mov_b32_e32 v17, v8
	v_lshlrev_b64 v[8:9], 3, v[16:17]
	v_add_co_u32_e64 v8, s[0:1], v10, v8
	v_addc_co_u32_e64 v9, s[0:1], v11, v9, s[0:1]
	global_load_dwordx2 v[16:17], v[8:9], off
	s_waitcnt lgkmcnt(1)
	v_mul_f32_e32 v15, s31, v6
	s_waitcnt lgkmcnt(0)
	v_pk_mul_f32 v[18:19], s[30:31], v[6:7]
	v_fmac_f32_e32 v15, s30, v7
	v_sub_f32_e32 v6, v18, v19
	s_waitcnt vmcnt(0)
	v_mul_f32_e32 v7, s9, v17
	v_mul_f32_e32 v17, s8, v17
	v_fma_f32 v7, s8, v16, -v7
	v_fmac_f32_e32 v17, s9, v16
	v_add_f32_e32 v6, v6, v7
	v_add_f32_e32 v7, v15, v17
	global_store_dwordx2 v[8:9], v[6:7], off
.LBB63_33:
	s_or_b64 exec, exec, s[2:3]
	s_waitcnt lgkmcnt(1)
	ds_bpermute_b32 v6, v14, v12
	s_waitcnt lgkmcnt(1)
	ds_bpermute_b32 v7, v14, v0
	v_or_b32_e32 v8, 2, v4
	v_mov_b32_e32 v9, v5
	v_cmp_lt_u64_e64 s[0:1], v[8:9], v[2:3]
	s_and_b64 s[0:1], vcc, s[0:1]
	s_and_saveexec_b64 s[2:3], s[0:1]
	s_cbranch_execz .LBB63_35
; %bb.34:
	v_mad_u64_u32 v[16:17], s[0:1], v8, s40, 0
	v_mov_b32_e32 v0, v17
	v_mad_u64_u32 v[8:9], s[0:1], v8, s41, v[0:1]
	v_mov_b32_e32 v17, v8
	v_lshlrev_b64 v[8:9], 3, v[16:17]
	v_add_co_u32_e64 v8, s[0:1], v10, v8
	v_addc_co_u32_e64 v9, s[0:1], v11, v9, s[0:1]
	global_load_dwordx2 v[16:17], v[8:9], off
	s_waitcnt lgkmcnt(1)
	v_mul_f32_e32 v0, s31, v6
	s_waitcnt lgkmcnt(0)
	v_pk_mul_f32 v[18:19], s[30:31], v[6:7]
	v_fmac_f32_e32 v0, s30, v7
	v_sub_f32_e32 v6, v18, v19
	s_waitcnt vmcnt(0)
	v_mul_f32_e32 v7, s9, v17
	v_mul_f32_e32 v12, s8, v17
	v_fma_f32 v7, s8, v16, -v7
	v_fmac_f32_e32 v12, s9, v16
	v_add_f32_e32 v6, v6, v7
	v_add_f32_e32 v7, v0, v12
	global_store_dwordx2 v[8:9], v[6:7], off
.LBB63_35:
	s_or_b64 exec, exec, s[2:3]
	ds_bpermute_b32 v0, v14, v13
	ds_bpermute_b32 v1, v14, v1
	v_or_b32_e32 v4, 3, v4
	v_cmp_lt_u64_e64 s[0:1], v[4:5], v[2:3]
	s_and_b64 s[0:1], vcc, s[0:1]
	s_and_b64 exec, exec, s[0:1]
	s_cbranch_execz .LBB63_37
; %bb.36:
	v_mad_u64_u32 v[2:3], s[0:1], v4, s40, 0
	s_waitcnt lgkmcnt(3)
	v_mov_b32_e32 v6, v3
	s_waitcnt lgkmcnt(2)
	v_mad_u64_u32 v[4:5], s[0:1], v4, s41, v[6:7]
	v_mov_b32_e32 v3, v4
	v_lshlrev_b64 v[2:3], 3, v[2:3]
	v_add_co_u32_e32 v2, vcc, v10, v2
	v_addc_co_u32_e32 v3, vcc, v11, v3, vcc
	global_load_dwordx2 v[4:5], v[2:3], off
	s_waitcnt lgkmcnt(0)
	v_pk_mul_f32 v[6:7], s[30:31], v[0:1]
	v_mov_b32_e32 v6, v1
	s_mov_b32 s0, s31
	v_mov_b32_e32 v8, v7
	v_pk_mul_f32 v[6:7], s[30:31], v[6:7] op_sel_hi:[1,0]
	v_pk_fma_f32 v[8:9], s[30:31], v[0:1], v[8:9] neg_lo:[0,0,1] neg_hi:[0,0,1]
	v_pk_fma_f32 v[0:1], s[0:1], v[0:1], v[6:7]
	s_mov_b32 s2, s9
	s_waitcnt vmcnt(0)
	v_pk_mul_f32 v[6:7], s[8:9], v[4:5]
	v_mov_b32_e32 v6, v5
	v_mov_b32_e32 v10, v7
	v_pk_mul_f32 v[6:7], s[8:9], v[6:7]
	v_pk_fma_f32 v[10:11], s[8:9], v[4:5], v[10:11] neg_lo:[0,0,1] neg_hi:[0,0,1]
	v_pk_fma_f32 v[4:5], s[2:3], v[4:5], v[6:7]
	v_pk_add_f32 v[6:7], v[8:9], v[10:11]
	v_pk_add_f32 v[0:1], v[0:1], v[4:5]
	v_mov_b32_e32 v7, v0
	global_store_dwordx2 v[2:3], v[6:7], off
.LBB63_37:
	s_endpgm
	.section	.rodata,"a",@progbits
	.p2align	6, 0x0
	.amdhsa_kernel _ZN9rocsolver6v33100L16mfma_gemm_kernelI19rocblas_complex_numIfElS3_PS3_S4_PKS4_EEv18rocblas_operation_S7_T0_S8_S8_T1_T2_lS8_S8_lT3_lS8_S8_lS9_T4_lS8_S8_l
		.amdhsa_group_segment_fixed_size 20480
		.amdhsa_private_segment_fixed_size 0
		.amdhsa_kernarg_size 424
		.amdhsa_user_sgpr_count 8
		.amdhsa_user_sgpr_private_segment_buffer 1
		.amdhsa_user_sgpr_dispatch_ptr 1
		.amdhsa_user_sgpr_queue_ptr 0
		.amdhsa_user_sgpr_kernarg_segment_ptr 1
		.amdhsa_user_sgpr_dispatch_id 0
		.amdhsa_user_sgpr_flat_scratch_init 0
		.amdhsa_user_sgpr_kernarg_preload_length 0
		.amdhsa_user_sgpr_kernarg_preload_offset 0
		.amdhsa_user_sgpr_private_segment_size 0
		.amdhsa_uses_dynamic_stack 0
		.amdhsa_system_sgpr_private_segment_wavefront_offset 0
		.amdhsa_system_sgpr_workgroup_id_x 1
		.amdhsa_system_sgpr_workgroup_id_y 1
		.amdhsa_system_sgpr_workgroup_id_z 1
		.amdhsa_system_sgpr_workgroup_info 0
		.amdhsa_system_vgpr_workitem_id 2
		.amdhsa_next_free_vgpr 51
		.amdhsa_next_free_sgpr 58
		.amdhsa_accum_offset 52
		.amdhsa_reserve_vcc 1
		.amdhsa_reserve_flat_scratch 0
		.amdhsa_float_round_mode_32 0
		.amdhsa_float_round_mode_16_64 0
		.amdhsa_float_denorm_mode_32 3
		.amdhsa_float_denorm_mode_16_64 3
		.amdhsa_dx10_clamp 1
		.amdhsa_ieee_mode 1
		.amdhsa_fp16_overflow 0
		.amdhsa_tg_split 0
		.amdhsa_exception_fp_ieee_invalid_op 0
		.amdhsa_exception_fp_denorm_src 0
		.amdhsa_exception_fp_ieee_div_zero 0
		.amdhsa_exception_fp_ieee_overflow 0
		.amdhsa_exception_fp_ieee_underflow 0
		.amdhsa_exception_fp_ieee_inexact 0
		.amdhsa_exception_int_div_zero 0
	.end_amdhsa_kernel
	.section	.text._ZN9rocsolver6v33100L16mfma_gemm_kernelI19rocblas_complex_numIfElS3_PS3_S4_PKS4_EEv18rocblas_operation_S7_T0_S8_S8_T1_T2_lS8_S8_lT3_lS8_S8_lS9_T4_lS8_S8_l,"axG",@progbits,_ZN9rocsolver6v33100L16mfma_gemm_kernelI19rocblas_complex_numIfElS3_PS3_S4_PKS4_EEv18rocblas_operation_S7_T0_S8_S8_T1_T2_lS8_S8_lT3_lS8_S8_lS9_T4_lS8_S8_l,comdat
.Lfunc_end63:
	.size	_ZN9rocsolver6v33100L16mfma_gemm_kernelI19rocblas_complex_numIfElS3_PS3_S4_PKS4_EEv18rocblas_operation_S7_T0_S8_S8_T1_T2_lS8_S8_lT3_lS8_S8_lS9_T4_lS8_S8_l, .Lfunc_end63-_ZN9rocsolver6v33100L16mfma_gemm_kernelI19rocblas_complex_numIfElS3_PS3_S4_PKS4_EEv18rocblas_operation_S7_T0_S8_S8_T1_T2_lS8_S8_lT3_lS8_S8_lS9_T4_lS8_S8_l
                                        ; -- End function
	.section	.AMDGPU.csdata,"",@progbits
; Kernel info:
; codeLenInByte = 2716
; NumSgprs: 62
; NumVgprs: 51
; NumAgprs: 0
; TotalNumVgprs: 51
; ScratchSize: 0
; MemoryBound: 0
; FloatMode: 240
; IeeeMode: 1
; LDSByteSize: 20480 bytes/workgroup (compile time only)
; SGPRBlocks: 7
; VGPRBlocks: 6
; NumSGPRsForWavesPerEU: 62
; NumVGPRsForWavesPerEU: 51
; AccumOffset: 52
; Occupancy: 8
; WaveLimiterHint : 1
; COMPUTE_PGM_RSRC2:SCRATCH_EN: 0
; COMPUTE_PGM_RSRC2:USER_SGPR: 8
; COMPUTE_PGM_RSRC2:TRAP_HANDLER: 0
; COMPUTE_PGM_RSRC2:TGID_X_EN: 1
; COMPUTE_PGM_RSRC2:TGID_Y_EN: 1
; COMPUTE_PGM_RSRC2:TGID_Z_EN: 1
; COMPUTE_PGM_RSRC2:TIDIG_COMP_CNT: 2
; COMPUTE_PGM_RSRC3_GFX90A:ACCUM_OFFSET: 12
; COMPUTE_PGM_RSRC3_GFX90A:TG_SPLIT: 0
	.section	.text._ZN9rocsolver6v33100L11gemm_kernelI19rocblas_complex_numIfElPKS3_PS3_S6_PKS6_EEvT0_S9_S9_T1_bT2_lS9_S9_lbT3_lS9_S9_lSA_T4_lS9_S9_l,"axG",@progbits,_ZN9rocsolver6v33100L11gemm_kernelI19rocblas_complex_numIfElPKS3_PS3_S6_PKS6_EEvT0_S9_S9_T1_bT2_lS9_S9_lbT3_lS9_S9_lSA_T4_lS9_S9_l,comdat
	.globl	_ZN9rocsolver6v33100L11gemm_kernelI19rocblas_complex_numIfElPKS3_PS3_S6_PKS6_EEvT0_S9_S9_T1_bT2_lS9_S9_lbT3_lS9_S9_lSA_T4_lS9_S9_l ; -- Begin function _ZN9rocsolver6v33100L11gemm_kernelI19rocblas_complex_numIfElPKS3_PS3_S6_PKS6_EEvT0_S9_S9_T1_bT2_lS9_S9_lbT3_lS9_S9_lSA_T4_lS9_S9_l
	.p2align	8
	.type	_ZN9rocsolver6v33100L11gemm_kernelI19rocblas_complex_numIfElPKS3_PS3_S6_PKS6_EEvT0_S9_S9_T1_bT2_lS9_S9_lbT3_lS9_S9_lSA_T4_lS9_S9_l,@function
_ZN9rocsolver6v33100L11gemm_kernelI19rocblas_complex_numIfElPKS3_PS3_S6_PKS6_EEvT0_S9_S9_T1_bT2_lS9_S9_lbT3_lS9_S9_lSA_T4_lS9_S9_l: ; @_ZN9rocsolver6v33100L11gemm_kernelI19rocblas_complex_numIfElPKS3_PS3_S6_PKS6_EEvT0_S9_S9_T1_bT2_lS9_S9_lbT3_lS9_S9_lSA_T4_lS9_S9_l
; %bb.0:
	s_load_dword s0, s[4:5], 0xbc
	s_load_dwordx8 s[24:31], s[4:5], 0x0
	v_and_b32_e32 v4, 0x3ff, v0
	v_mov_b32_e32 v5, 0
	v_mov_b32_e32 v1, s6
	s_waitcnt lgkmcnt(0)
	s_lshr_b32 s2, s0, 16
	s_and_b32 s0, s0, 0xffff
	v_mad_u64_u32 v[2:3], s[0:1], s0, v1, v[4:5]
	v_bfe_u32 v4, v0, 10, 10
	v_mov_b32_e32 v0, s7
	v_mad_u64_u32 v[0:1], s[0:1], s2, v0, v[4:5]
	v_cmp_gt_i64_e32 vcc, s[24:25], v[2:3]
	v_cmp_gt_i64_e64 s[0:1], s[26:27], v[0:1]
	s_mov_b32 s9, 0
	s_and_b64 s[0:1], vcc, s[0:1]
	s_and_saveexec_b64 s[2:3], s[0:1]
	s_cbranch_execz .LBB64_9
; %bb.1:
	s_load_dwordx16 s[12:27], s[4:5], 0x58
	s_load_dwordx2 s[2:3], s[30:31], 0x0
	s_lshl_b64 s[6:7], s[8:9], 3
	v_cmp_lt_i64_e64 s[10:11], s[28:29], 1
	v_mov_b32_e32 v4, 0
	s_waitcnt lgkmcnt(0)
	s_add_u32 s6, s24, s6
	s_addc_u32 s7, s25, s7
	s_load_dwordx2 s[0:1], s[22:23], 0x0
	s_and_b64 vcc, exec, s[10:11]
	s_load_dwordx2 s[6:7], s[6:7], 0x0
	s_cbranch_vccnz .LBB64_8
; %bb.2:
	s_load_dword s9, s[4:5], 0x20
	s_load_dwordx8 s[36:43], s[4:5], 0x28
	s_load_dwordx2 s[24:25], s[4:5], 0x48
	s_load_dword s22, s[4:5], 0x50
	v_mul_lo_u32 v8, s19, v0
	s_waitcnt lgkmcnt(0)
	s_bitcmp1_b32 s9, 0
	s_cselect_b64 s[10:11], -1, 0
	s_xor_b64 s[10:11], s[10:11], -1
	s_bitcmp1_b32 s22, 0
	s_mul_i32 s9, s25, s8
	s_mul_hi_u32 s25, s24, s8
	s_cselect_b64 s[22:23], -1, 0
	v_mad_u64_u32 v[4:5], s[30:31], s40, v2, 0
	s_add_i32 s25, s25, s9
	s_mul_i32 s24, s24, s8
	s_lshl_b64 s[24:25], s[24:25], 3
	s_lshl_b64 s[30:31], s[38:39], 3
	s_add_u32 s9, s36, s30
	v_mul_lo_u32 v6, s41, v2
	v_mul_lo_u32 v7, s40, v3
	s_addc_u32 s30, s37, s31
	v_add3_u32 v5, v5, v7, v6
	s_add_u32 s9, s9, s24
	v_lshlrev_b64 v[4:5], 3, v[4:5]
	s_addc_u32 s24, s30, s25
	v_mov_b32_e32 v6, s24
	v_add_co_u32_e32 v4, vcc, s9, v4
	v_addc_co_u32_e32 v5, vcc, v6, v5, vcc
	v_add_co_u32_e32 v6, vcc, 4, v4
	v_addc_co_u32_e32 v7, vcc, 0, v5, vcc
	v_mul_lo_u32 v9, s18, v1
	v_mad_u64_u32 v[4:5], s[18:19], s18, v0, 0
	s_mul_i32 s9, s21, s8
	s_mul_hi_u32 s18, s20, s8
	s_add_i32 s9, s18, s9
	s_mul_i32 s8, s20, s8
	s_lshl_b64 s[24:25], s[42:43], 3
	s_lshl_b64 s[8:9], s[8:9], 3
	;; [unrolled: 1-line block ×3, first 2 shown]
	s_add_u32 s12, s12, s14
	s_addc_u32 s13, s13, s15
	v_add3_u32 v5, v5, v9, v8
	s_add_u32 s8, s12, s8
	v_lshlrev_b64 v[4:5], 3, v[4:5]
	s_addc_u32 s9, s13, s9
	v_mov_b32_e32 v8, s9
	v_add_co_u32_e32 v4, vcc, s8, v4
	v_addc_co_u32_e32 v5, vcc, v8, v5, vcc
	v_add_co_u32_e32 v8, vcc, 4, v4
	s_lshl_b64 s[8:9], s[16:17], 3
	v_addc_co_u32_e32 v9, vcc, 0, v5, vcc
	v_mov_b32_e32 v5, 0
	v_mov_b32_e32 v12, s25
	;; [unrolled: 1-line block ×4, first 2 shown]
	s_branch .LBB64_4
.LBB64_3:                               ;   in Loop: Header=BB64_4 Depth=1
	global_load_dwordx2 v[14:15], v[8:9], off offset:-4
	v_add_co_u32_e32 v6, vcc, s24, v6
	s_add_u32 s28, s28, -1
	v_addc_co_u32_e32 v7, vcc, v7, v12, vcc
	s_addc_u32 s29, s29, -1
	v_add_co_u32_e32 v8, vcc, s8, v8
	s_cmp_eq_u64 s[28:29], 0
	v_addc_co_u32_e32 v9, vcc, v9, v13, vcc
	s_waitcnt vmcnt(0)
	v_cndmask_b32_e64 v15, v15, -v15, s[22:23]
	v_mul_f32_e32 v16, v14, v11
	v_mul_f32_e32 v11, v15, v11
	v_fmac_f32_e32 v16, v15, v10
	v_fma_f32 v10, v14, v10, -v11
	v_add_f32_e32 v5, v5, v16
	v_add_f32_e32 v4, v4, v10
	s_cbranch_scc1 .LBB64_8
.LBB64_4:                               ; =>This Inner Loop Header: Depth=1
	s_and_b64 vcc, exec, s[10:11]
	s_cbranch_vccz .LBB64_6
; %bb.5:                                ;   in Loop: Header=BB64_4 Depth=1
	global_load_dwordx2 v[10:11], v[6:7], off offset:-4
	s_cbranch_execnz .LBB64_3
	s_branch .LBB64_7
.LBB64_6:                               ;   in Loop: Header=BB64_4 Depth=1
                                        ; implicit-def: $vgpr11
.LBB64_7:                               ;   in Loop: Header=BB64_4 Depth=1
	global_load_dwordx2 v[10:11], v[6:7], off offset:-4
	s_waitcnt vmcnt(0)
	v_xor_b32_e32 v11, 0x80000000, v11
	s_branch .LBB64_3
.LBB64_8:
	s_load_dwordx4 s[8:11], s[4:5], 0x98
	s_lshl_b64 s[4:5], s[26:27], 3
	s_waitcnt lgkmcnt(0)
	s_add_u32 s6, s6, s4
	s_addc_u32 s7, s7, s5
	v_mul_lo_u32 v6, v3, s8
	v_mul_lo_u32 v7, v2, s9
	v_mad_u64_u32 v[2:3], s[4:5], v2, s8, 0
	v_add3_u32 v3, v3, v7, v6
	v_mul_lo_u32 v6, v1, s10
	v_mul_lo_u32 v7, v0, s11
	v_mad_u64_u32 v[0:1], s[4:5], v0, s10, 0
	v_lshlrev_b64 v[2:3], 3, v[2:3]
	v_add3_u32 v1, v1, v7, v6
	v_mov_b32_e32 v6, s7
	v_add_co_u32_e32 v2, vcc, s6, v2
	v_addc_co_u32_e32 v3, vcc, v6, v3, vcc
	v_lshlrev_b64 v[0:1], 3, v[0:1]
	v_add_co_u32_e32 v0, vcc, v2, v0
	v_addc_co_u32_e32 v1, vcc, v3, v1, vcc
	global_load_dwordx2 v[2:3], v[0:1], off
	v_mul_f32_e32 v6, s3, v5
	v_mul_f32_e32 v5, s2, v5
	v_fma_f32 v6, s2, v4, -v6
	v_fmac_f32_e32 v5, s3, v4
	s_waitcnt vmcnt(0)
	v_mul_f32_e32 v4, s1, v3
	v_mul_f32_e32 v3, s0, v3
	v_fma_f32 v4, s0, v2, -v4
	v_fmac_f32_e32 v3, s1, v2
	v_add_f32_e32 v2, v6, v4
	v_add_f32_e32 v3, v5, v3
	global_store_dwordx2 v[0:1], v[2:3], off
.LBB64_9:
	s_endpgm
	.section	.rodata,"a",@progbits
	.p2align	6, 0x0
	.amdhsa_kernel _ZN9rocsolver6v33100L11gemm_kernelI19rocblas_complex_numIfElPKS3_PS3_S6_PKS6_EEvT0_S9_S9_T1_bT2_lS9_S9_lbT3_lS9_S9_lSA_T4_lS9_S9_l
		.amdhsa_group_segment_fixed_size 0
		.amdhsa_private_segment_fixed_size 0
		.amdhsa_kernarg_size 432
		.amdhsa_user_sgpr_count 6
		.amdhsa_user_sgpr_private_segment_buffer 1
		.amdhsa_user_sgpr_dispatch_ptr 0
		.amdhsa_user_sgpr_queue_ptr 0
		.amdhsa_user_sgpr_kernarg_segment_ptr 1
		.amdhsa_user_sgpr_dispatch_id 0
		.amdhsa_user_sgpr_flat_scratch_init 0
		.amdhsa_user_sgpr_kernarg_preload_length 0
		.amdhsa_user_sgpr_kernarg_preload_offset 0
		.amdhsa_user_sgpr_private_segment_size 0
		.amdhsa_uses_dynamic_stack 0
		.amdhsa_system_sgpr_private_segment_wavefront_offset 0
		.amdhsa_system_sgpr_workgroup_id_x 1
		.amdhsa_system_sgpr_workgroup_id_y 1
		.amdhsa_system_sgpr_workgroup_id_z 1
		.amdhsa_system_sgpr_workgroup_info 0
		.amdhsa_system_vgpr_workitem_id 1
		.amdhsa_next_free_vgpr 17
		.amdhsa_next_free_sgpr 44
		.amdhsa_accum_offset 20
		.amdhsa_reserve_vcc 1
		.amdhsa_reserve_flat_scratch 0
		.amdhsa_float_round_mode_32 0
		.amdhsa_float_round_mode_16_64 0
		.amdhsa_float_denorm_mode_32 3
		.amdhsa_float_denorm_mode_16_64 3
		.amdhsa_dx10_clamp 1
		.amdhsa_ieee_mode 1
		.amdhsa_fp16_overflow 0
		.amdhsa_tg_split 0
		.amdhsa_exception_fp_ieee_invalid_op 0
		.amdhsa_exception_fp_denorm_src 0
		.amdhsa_exception_fp_ieee_div_zero 0
		.amdhsa_exception_fp_ieee_overflow 0
		.amdhsa_exception_fp_ieee_underflow 0
		.amdhsa_exception_fp_ieee_inexact 0
		.amdhsa_exception_int_div_zero 0
	.end_amdhsa_kernel
	.section	.text._ZN9rocsolver6v33100L11gemm_kernelI19rocblas_complex_numIfElPKS3_PS3_S6_PKS6_EEvT0_S9_S9_T1_bT2_lS9_S9_lbT3_lS9_S9_lSA_T4_lS9_S9_l,"axG",@progbits,_ZN9rocsolver6v33100L11gemm_kernelI19rocblas_complex_numIfElPKS3_PS3_S6_PKS6_EEvT0_S9_S9_T1_bT2_lS9_S9_lbT3_lS9_S9_lSA_T4_lS9_S9_l,comdat
.Lfunc_end64:
	.size	_ZN9rocsolver6v33100L11gemm_kernelI19rocblas_complex_numIfElPKS3_PS3_S6_PKS6_EEvT0_S9_S9_T1_bT2_lS9_S9_lbT3_lS9_S9_lSA_T4_lS9_S9_l, .Lfunc_end64-_ZN9rocsolver6v33100L11gemm_kernelI19rocblas_complex_numIfElPKS3_PS3_S6_PKS6_EEvT0_S9_S9_T1_bT2_lS9_S9_lbT3_lS9_S9_lSA_T4_lS9_S9_l
                                        ; -- End function
	.section	.AMDGPU.csdata,"",@progbits
; Kernel info:
; codeLenInByte = 780
; NumSgprs: 48
; NumVgprs: 17
; NumAgprs: 0
; TotalNumVgprs: 17
; ScratchSize: 0
; MemoryBound: 0
; FloatMode: 240
; IeeeMode: 1
; LDSByteSize: 0 bytes/workgroup (compile time only)
; SGPRBlocks: 5
; VGPRBlocks: 2
; NumSGPRsForWavesPerEU: 48
; NumVGPRsForWavesPerEU: 17
; AccumOffset: 20
; Occupancy: 8
; WaveLimiterHint : 1
; COMPUTE_PGM_RSRC2:SCRATCH_EN: 0
; COMPUTE_PGM_RSRC2:USER_SGPR: 6
; COMPUTE_PGM_RSRC2:TRAP_HANDLER: 0
; COMPUTE_PGM_RSRC2:TGID_X_EN: 1
; COMPUTE_PGM_RSRC2:TGID_Y_EN: 1
; COMPUTE_PGM_RSRC2:TGID_Z_EN: 1
; COMPUTE_PGM_RSRC2:TIDIG_COMP_CNT: 1
; COMPUTE_PGM_RSRC3_GFX90A:ACCUM_OFFSET: 4
; COMPUTE_PGM_RSRC3_GFX90A:TG_SPLIT: 0
	.section	.text._ZN9rocsolver6v33100L11gemm_kernelI19rocblas_complex_numIfElS3_PS3_S4_PKS4_EEvT0_S7_S7_T1_bT2_lS7_S7_lbT3_lS7_S7_lS8_T4_lS7_S7_l,"axG",@progbits,_ZN9rocsolver6v33100L11gemm_kernelI19rocblas_complex_numIfElS3_PS3_S4_PKS4_EEvT0_S7_S7_T1_bT2_lS7_S7_lbT3_lS7_S7_lS8_T4_lS7_S7_l,comdat
	.globl	_ZN9rocsolver6v33100L11gemm_kernelI19rocblas_complex_numIfElS3_PS3_S4_PKS4_EEvT0_S7_S7_T1_bT2_lS7_S7_lbT3_lS7_S7_lS8_T4_lS7_S7_l ; -- Begin function _ZN9rocsolver6v33100L11gemm_kernelI19rocblas_complex_numIfElS3_PS3_S4_PKS4_EEvT0_S7_S7_T1_bT2_lS7_S7_lbT3_lS7_S7_lS8_T4_lS7_S7_l
	.p2align	8
	.type	_ZN9rocsolver6v33100L11gemm_kernelI19rocblas_complex_numIfElS3_PS3_S4_PKS4_EEvT0_S7_S7_T1_bT2_lS7_S7_lbT3_lS7_S7_lS8_T4_lS7_S7_l,@function
_ZN9rocsolver6v33100L11gemm_kernelI19rocblas_complex_numIfElS3_PS3_S4_PKS4_EEvT0_S7_S7_T1_bT2_lS7_S7_lbT3_lS7_S7_lS8_T4_lS7_S7_l: ; @_ZN9rocsolver6v33100L11gemm_kernelI19rocblas_complex_numIfElS3_PS3_S4_PKS4_EEvT0_S7_S7_T1_bT2_lS7_S7_lbT3_lS7_S7_lS8_T4_lS7_S7_l
; %bb.0:
	s_load_dword s10, s[4:5], 0xbc
	s_load_dwordx4 s[0:3], s[4:5], 0x0
	v_and_b32_e32 v4, 0x3ff, v0
	v_mov_b32_e32 v5, 0
	v_mov_b32_e32 v1, s6
	s_waitcnt lgkmcnt(0)
	s_lshr_b32 s12, s10, 16
	s_and_b32 s10, s10, 0xffff
	v_mad_u64_u32 v[2:3], s[10:11], s10, v1, v[4:5]
	v_bfe_u32 v4, v0, 10, 10
	v_mov_b32_e32 v0, s7
	v_mad_u64_u32 v[0:1], s[6:7], s12, v0, v[4:5]
	v_cmp_gt_i64_e32 vcc, s[0:1], v[2:3]
	v_cmp_gt_i64_e64 s[0:1], s[2:3], v[0:1]
	s_mov_b32 s9, 0
	s_and_b64 s[0:1], vcc, s[0:1]
	s_and_saveexec_b64 s[2:3], s[0:1]
	s_cbranch_execz .LBB65_9
; %bb.1:
	s_load_dwordx8 s[12:19], s[4:5], 0x88
	s_load_dwordx2 s[28:29], s[4:5], 0x10
	s_load_dwordx4 s[0:3], s[4:5], 0x18
	s_load_dwordx2 s[6:7], s[4:5], 0x80
	s_lshl_b64 s[10:11], s[8:9], 3
	s_waitcnt lgkmcnt(0)
	s_add_u32 s10, s12, s10
	s_addc_u32 s11, s13, s11
	s_load_dwordx2 s[10:11], s[10:11], 0x0
	v_cmp_lt_i64_e64 s[12:13], s[28:29], 1
	s_and_b64 vcc, exec, s[12:13]
	v_mov_b32_e32 v4, 0
	s_cbranch_vccnz .LBB65_8
; %bb.2:
	s_load_dwordx2 s[30:31], s[4:5], 0x48
	s_load_dword s9, s[4:5], 0x50
	s_load_dwordx8 s[36:43], s[4:5], 0x28
	s_load_dwordx8 s[20:27], s[4:5], 0x58
	s_bitcmp1_b32 s2, 0
	s_cselect_b64 s[2:3], -1, 0
	s_xor_b64 s[2:3], s[2:3], -1
	s_load_dwordx2 s[34:35], s[4:5], 0x78
	s_waitcnt lgkmcnt(0)
	v_mad_u64_u32 v[4:5], s[4:5], s40, v2, 0
	s_bitcmp1_b32 s9, 0
	s_mul_i32 s4, s31, s8
	s_mul_hi_u32 s5, s30, s8
	s_cselect_b64 s[12:13], -1, 0
	s_add_i32 s5, s5, s4
	s_mul_i32 s4, s30, s8
	s_lshl_b64 s[4:5], s[4:5], 3
	s_lshl_b64 s[30:31], s[38:39], 3
	s_add_u32 s9, s36, s30
	v_mul_lo_u32 v6, s41, v2
	v_mul_lo_u32 v7, s40, v3
	s_addc_u32 s30, s37, s31
	v_add3_u32 v5, v5, v7, v6
	s_add_u32 s4, s9, s4
	v_lshlrev_b64 v[4:5], 3, v[4:5]
	s_addc_u32 s5, s30, s5
	v_mov_b32_e32 v6, s5
	v_add_co_u32_e32 v4, vcc, s4, v4
	v_addc_co_u32_e32 v5, vcc, v6, v5, vcc
	v_add_co_u32_e32 v6, vcc, 4, v4
	v_addc_co_u32_e32 v7, vcc, 0, v5, vcc
	v_mul_lo_u32 v8, s27, v0
	v_mul_lo_u32 v9, s26, v1
	v_mad_u64_u32 v[4:5], s[26:27], s26, v0, 0
	s_mul_i32 s9, s35, s8
	s_mul_hi_u32 s26, s34, s8
	s_add_i32 s9, s26, s9
	s_mul_i32 s8, s34, s8
	s_lshl_b64 s[4:5], s[42:43], 3
	s_lshl_b64 s[8:9], s[8:9], 3
	;; [unrolled: 1-line block ×3, first 2 shown]
	s_add_u32 s20, s20, s22
	s_addc_u32 s21, s21, s23
	v_add3_u32 v5, v5, v9, v8
	s_add_u32 s8, s20, s8
	v_lshlrev_b64 v[4:5], 3, v[4:5]
	s_addc_u32 s9, s21, s9
	v_mov_b32_e32 v8, s9
	v_add_co_u32_e32 v4, vcc, s8, v4
	v_addc_co_u32_e32 v5, vcc, v8, v5, vcc
	v_add_co_u32_e32 v8, vcc, 4, v4
	s_lshl_b64 s[8:9], s[24:25], 3
	v_addc_co_u32_e32 v9, vcc, 0, v5, vcc
	v_mov_b32_e32 v5, 0
	v_mov_b32_e32 v12, s5
	;; [unrolled: 1-line block ×4, first 2 shown]
	s_branch .LBB65_4
.LBB65_3:                               ;   in Loop: Header=BB65_4 Depth=1
	global_load_dwordx2 v[14:15], v[8:9], off offset:-4
	v_add_co_u32_e32 v6, vcc, s4, v6
	s_add_u32 s28, s28, -1
	v_addc_co_u32_e32 v7, vcc, v7, v12, vcc
	s_addc_u32 s29, s29, -1
	v_add_co_u32_e32 v8, vcc, s8, v8
	s_cmp_eq_u64 s[28:29], 0
	v_addc_co_u32_e32 v9, vcc, v9, v13, vcc
	s_waitcnt vmcnt(0)
	v_cndmask_b32_e64 v15, v15, -v15, s[12:13]
	v_mul_f32_e32 v16, v14, v11
	v_mul_f32_e32 v11, v15, v11
	v_fmac_f32_e32 v16, v15, v10
	v_fma_f32 v10, v14, v10, -v11
	v_add_f32_e32 v5, v5, v16
	v_add_f32_e32 v4, v4, v10
	s_cbranch_scc1 .LBB65_8
.LBB65_4:                               ; =>This Inner Loop Header: Depth=1
	s_and_b64 vcc, exec, s[2:3]
	s_cbranch_vccz .LBB65_6
; %bb.5:                                ;   in Loop: Header=BB65_4 Depth=1
	global_load_dwordx2 v[10:11], v[6:7], off offset:-4
	s_cbranch_execnz .LBB65_3
	s_branch .LBB65_7
.LBB65_6:                               ;   in Loop: Header=BB65_4 Depth=1
                                        ; implicit-def: $vgpr11
.LBB65_7:                               ;   in Loop: Header=BB65_4 Depth=1
	global_load_dwordx2 v[10:11], v[6:7], off offset:-4
	s_waitcnt vmcnt(0)
	v_xor_b32_e32 v11, 0x80000000, v11
	s_branch .LBB65_3
.LBB65_8:
	s_lshl_b64 s[2:3], s[14:15], 3
	s_waitcnt lgkmcnt(0)
	s_add_u32 s4, s10, s2
	s_addc_u32 s5, s11, s3
	v_mul_lo_u32 v6, v3, s16
	v_mul_lo_u32 v7, v2, s17
	v_mad_u64_u32 v[2:3], s[2:3], v2, s16, 0
	v_add3_u32 v3, v3, v7, v6
	v_mul_lo_u32 v6, v1, s18
	v_mul_lo_u32 v7, v0, s19
	v_mad_u64_u32 v[0:1], s[2:3], v0, s18, 0
	v_lshlrev_b64 v[2:3], 3, v[2:3]
	v_add3_u32 v1, v1, v7, v6
	v_mov_b32_e32 v6, s5
	v_add_co_u32_e32 v2, vcc, s4, v2
	v_addc_co_u32_e32 v3, vcc, v6, v3, vcc
	v_lshlrev_b64 v[0:1], 3, v[0:1]
	v_add_co_u32_e32 v0, vcc, v2, v0
	v_addc_co_u32_e32 v1, vcc, v3, v1, vcc
	global_load_dwordx2 v[2:3], v[0:1], off
	v_mul_f32_e32 v6, s1, v5
	v_mul_f32_e32 v5, s0, v5
	v_fma_f32 v6, s0, v4, -v6
	v_fmac_f32_e32 v5, s1, v4
	s_waitcnt vmcnt(0)
	v_mul_f32_e32 v4, s7, v3
	v_mul_f32_e32 v3, s6, v3
	v_fma_f32 v4, s6, v2, -v4
	v_fmac_f32_e32 v3, s7, v2
	v_add_f32_e32 v2, v6, v4
	v_add_f32_e32 v3, v5, v3
	global_store_dwordx2 v[0:1], v[2:3], off
.LBB65_9:
	s_endpgm
	.section	.rodata,"a",@progbits
	.p2align	6, 0x0
	.amdhsa_kernel _ZN9rocsolver6v33100L11gemm_kernelI19rocblas_complex_numIfElS3_PS3_S4_PKS4_EEvT0_S7_S7_T1_bT2_lS7_S7_lbT3_lS7_S7_lS8_T4_lS7_S7_l
		.amdhsa_group_segment_fixed_size 0
		.amdhsa_private_segment_fixed_size 0
		.amdhsa_kernarg_size 432
		.amdhsa_user_sgpr_count 6
		.amdhsa_user_sgpr_private_segment_buffer 1
		.amdhsa_user_sgpr_dispatch_ptr 0
		.amdhsa_user_sgpr_queue_ptr 0
		.amdhsa_user_sgpr_kernarg_segment_ptr 1
		.amdhsa_user_sgpr_dispatch_id 0
		.amdhsa_user_sgpr_flat_scratch_init 0
		.amdhsa_user_sgpr_kernarg_preload_length 0
		.amdhsa_user_sgpr_kernarg_preload_offset 0
		.amdhsa_user_sgpr_private_segment_size 0
		.amdhsa_uses_dynamic_stack 0
		.amdhsa_system_sgpr_private_segment_wavefront_offset 0
		.amdhsa_system_sgpr_workgroup_id_x 1
		.amdhsa_system_sgpr_workgroup_id_y 1
		.amdhsa_system_sgpr_workgroup_id_z 1
		.amdhsa_system_sgpr_workgroup_info 0
		.amdhsa_system_vgpr_workitem_id 1
		.amdhsa_next_free_vgpr 17
		.amdhsa_next_free_sgpr 44
		.amdhsa_accum_offset 20
		.amdhsa_reserve_vcc 1
		.amdhsa_reserve_flat_scratch 0
		.amdhsa_float_round_mode_32 0
		.amdhsa_float_round_mode_16_64 0
		.amdhsa_float_denorm_mode_32 3
		.amdhsa_float_denorm_mode_16_64 3
		.amdhsa_dx10_clamp 1
		.amdhsa_ieee_mode 1
		.amdhsa_fp16_overflow 0
		.amdhsa_tg_split 0
		.amdhsa_exception_fp_ieee_invalid_op 0
		.amdhsa_exception_fp_denorm_src 0
		.amdhsa_exception_fp_ieee_div_zero 0
		.amdhsa_exception_fp_ieee_overflow 0
		.amdhsa_exception_fp_ieee_underflow 0
		.amdhsa_exception_fp_ieee_inexact 0
		.amdhsa_exception_int_div_zero 0
	.end_amdhsa_kernel
	.section	.text._ZN9rocsolver6v33100L11gemm_kernelI19rocblas_complex_numIfElS3_PS3_S4_PKS4_EEvT0_S7_S7_T1_bT2_lS7_S7_lbT3_lS7_S7_lS8_T4_lS7_S7_l,"axG",@progbits,_ZN9rocsolver6v33100L11gemm_kernelI19rocblas_complex_numIfElS3_PS3_S4_PKS4_EEvT0_S7_S7_T1_bT2_lS7_S7_lbT3_lS7_S7_lS8_T4_lS7_S7_l,comdat
.Lfunc_end65:
	.size	_ZN9rocsolver6v33100L11gemm_kernelI19rocblas_complex_numIfElS3_PS3_S4_PKS4_EEvT0_S7_S7_T1_bT2_lS7_S7_lbT3_lS7_S7_lS8_T4_lS7_S7_l, .Lfunc_end65-_ZN9rocsolver6v33100L11gemm_kernelI19rocblas_complex_numIfElS3_PS3_S4_PKS4_EEvT0_S7_S7_T1_bT2_lS7_S7_lbT3_lS7_S7_lS8_T4_lS7_S7_l
                                        ; -- End function
	.section	.AMDGPU.csdata,"",@progbits
; Kernel info:
; codeLenInByte = 788
; NumSgprs: 48
; NumVgprs: 17
; NumAgprs: 0
; TotalNumVgprs: 17
; ScratchSize: 0
; MemoryBound: 0
; FloatMode: 240
; IeeeMode: 1
; LDSByteSize: 0 bytes/workgroup (compile time only)
; SGPRBlocks: 5
; VGPRBlocks: 2
; NumSGPRsForWavesPerEU: 48
; NumVGPRsForWavesPerEU: 17
; AccumOffset: 20
; Occupancy: 8
; WaveLimiterHint : 1
; COMPUTE_PGM_RSRC2:SCRATCH_EN: 0
; COMPUTE_PGM_RSRC2:USER_SGPR: 6
; COMPUTE_PGM_RSRC2:TRAP_HANDLER: 0
; COMPUTE_PGM_RSRC2:TGID_X_EN: 1
; COMPUTE_PGM_RSRC2:TGID_Y_EN: 1
; COMPUTE_PGM_RSRC2:TGID_Z_EN: 1
; COMPUTE_PGM_RSRC2:TIDIG_COMP_CNT: 1
; COMPUTE_PGM_RSRC3_GFX90A:ACCUM_OFFSET: 4
; COMPUTE_PGM_RSRC3_GFX90A:TG_SPLIT: 0
	.text
	.p2alignl 6, 3212836864
	.fill 256, 4, 3212836864
	.type	__hip_cuid_d82401792ad3057d,@object ; @__hip_cuid_d82401792ad3057d
	.section	.bss,"aw",@nobits
	.globl	__hip_cuid_d82401792ad3057d
__hip_cuid_d82401792ad3057d:
	.byte	0                               ; 0x0
	.size	__hip_cuid_d82401792ad3057d, 1

	.ident	"AMD clang version 19.0.0git (https://github.com/RadeonOpenCompute/llvm-project roc-6.4.0 25133 c7fe45cf4b819c5991fe208aaa96edf142730f1d)"
	.section	".note.GNU-stack","",@progbits
	.addrsig
	.addrsig_sym __hip_cuid_d82401792ad3057d
	.amdgpu_metadata
---
amdhsa.kernels:
  - .agpr_count:     0
    .args:
      - .offset:         0
        .size:           4
        .value_kind:     by_value
      - .offset:         4
        .size:           4
        .value_kind:     by_value
      - .offset:         8
        .size:           4
        .value_kind:     by_value
      - .offset:         12
        .size:           4
        .value_kind:     by_value
      - .offset:         16
        .size:           4
        .value_kind:     by_value
      - .address_space:  global
        .offset:         24
        .size:           8
        .value_kind:     global_buffer
      - .address_space:  global
        .offset:         32
        .size:           8
        .value_kind:     global_buffer
      - .offset:         40
        .size:           8
        .value_kind:     by_value
      - .offset:         48
        .size:           4
        .value_kind:     by_value
      - .offset:         52
        .size:           4
        .value_kind:     by_value
      - .offset:         56
        .size:           8
        .value_kind:     by_value
      - .address_space:  global
        .offset:         64
        .size:           8
        .value_kind:     global_buffer
      - .offset:         72
        .size:           8
        .value_kind:     by_value
      - .offset:         80
        .size:           4
        .value_kind:     by_value
      - .offset:         84
        .size:           4
        .value_kind:     by_value
      - .offset:         88
        .size:           8
        .value_kind:     by_value
      - .address_space:  global
        .offset:         96
        .size:           8
        .value_kind:     global_buffer
      - .address_space:  global
        .offset:         104
        .size:           8
        .value_kind:     global_buffer
      - .offset:         112
        .size:           8
        .value_kind:     by_value
      - .offset:         120
        .size:           4
        .value_kind:     by_value
      - .offset:         124
        .size:           4
        .value_kind:     by_value
      - .offset:         128
        .size:           8
        .value_kind:     by_value
      - .offset:         136
        .size:           4
        .value_kind:     hidden_block_count_x
      - .offset:         140
        .size:           4
        .value_kind:     hidden_block_count_y
      - .offset:         144
        .size:           4
        .value_kind:     hidden_block_count_z
      - .offset:         148
        .size:           2
        .value_kind:     hidden_group_size_x
      - .offset:         150
        .size:           2
        .value_kind:     hidden_group_size_y
      - .offset:         152
        .size:           2
        .value_kind:     hidden_group_size_z
      - .offset:         154
        .size:           2
        .value_kind:     hidden_remainder_x
      - .offset:         156
        .size:           2
        .value_kind:     hidden_remainder_y
      - .offset:         158
        .size:           2
        .value_kind:     hidden_remainder_z
      - .offset:         176
        .size:           8
        .value_kind:     hidden_global_offset_x
      - .offset:         184
        .size:           8
        .value_kind:     hidden_global_offset_y
      - .offset:         192
        .size:           8
        .value_kind:     hidden_global_offset_z
      - .offset:         200
        .size:           2
        .value_kind:     hidden_grid_dims
    .group_segment_fixed_size: 20480
    .kernarg_segment_align: 8
    .kernarg_segment_size: 392
    .language:       OpenCL C
    .language_version:
      - 2
      - 0
    .max_flat_workgroup_size: 1024
    .name:           _ZN9rocsolver6v33100L16mfma_gemm_kernelI19rocblas_complex_numIfEiPKS3_PS3_S6_S6_EEv18rocblas_operation_S7_T0_S8_S8_T1_T2_lS8_S8_lT3_lS8_S8_lS9_T4_lS8_S8_l
    .private_segment_fixed_size: 0
    .sgpr_count:     45
    .sgpr_spill_count: 0
    .symbol:         _ZN9rocsolver6v33100L16mfma_gemm_kernelI19rocblas_complex_numIfEiPKS3_PS3_S6_S6_EEv18rocblas_operation_S7_T0_S8_S8_T1_T2_lS8_S8_lT3_lS8_S8_lS9_T4_lS8_S8_l.kd
    .uniform_work_group_size: 1
    .uses_dynamic_stack: false
    .vgpr_count:     50
    .vgpr_spill_count: 0
    .wavefront_size: 64
  - .agpr_count:     0
    .args:
      - .offset:         0
        .size:           4
        .value_kind:     by_value
      - .offset:         4
        .size:           4
        .value_kind:     by_value
      - .offset:         8
        .size:           4
        .value_kind:     by_value
      - .offset:         12
        .size:           4
        .value_kind:     by_value
      - .offset:         16
        .size:           4
        .value_kind:     by_value
      - .offset:         20
        .size:           8
        .value_kind:     by_value
      - .address_space:  global
        .offset:         32
        .size:           8
        .value_kind:     global_buffer
      - .offset:         40
        .size:           8
        .value_kind:     by_value
      - .offset:         48
        .size:           4
        .value_kind:     by_value
      - .offset:         52
        .size:           4
        .value_kind:     by_value
      - .offset:         56
        .size:           8
        .value_kind:     by_value
      - .address_space:  global
        .offset:         64
        .size:           8
        .value_kind:     global_buffer
      - .offset:         72
        .size:           8
        .value_kind:     by_value
      - .offset:         80
        .size:           4
        .value_kind:     by_value
      - .offset:         84
        .size:           4
        .value_kind:     by_value
      - .offset:         88
        .size:           8
        .value_kind:     by_value
      - .offset:         96
        .size:           8
        .value_kind:     by_value
      - .address_space:  global
        .offset:         104
        .size:           8
        .value_kind:     global_buffer
      - .offset:         112
        .size:           8
        .value_kind:     by_value
      - .offset:         120
        .size:           4
        .value_kind:     by_value
      - .offset:         124
        .size:           4
        .value_kind:     by_value
      - .offset:         128
        .size:           8
        .value_kind:     by_value
      - .offset:         136
        .size:           4
        .value_kind:     hidden_block_count_x
      - .offset:         140
        .size:           4
        .value_kind:     hidden_block_count_y
      - .offset:         144
        .size:           4
        .value_kind:     hidden_block_count_z
      - .offset:         148
        .size:           2
        .value_kind:     hidden_group_size_x
      - .offset:         150
        .size:           2
        .value_kind:     hidden_group_size_y
      - .offset:         152
        .size:           2
        .value_kind:     hidden_group_size_z
      - .offset:         154
        .size:           2
        .value_kind:     hidden_remainder_x
      - .offset:         156
        .size:           2
        .value_kind:     hidden_remainder_y
      - .offset:         158
        .size:           2
        .value_kind:     hidden_remainder_z
      - .offset:         176
        .size:           8
        .value_kind:     hidden_global_offset_x
      - .offset:         184
        .size:           8
        .value_kind:     hidden_global_offset_y
      - .offset:         192
        .size:           8
        .value_kind:     hidden_global_offset_z
      - .offset:         200
        .size:           2
        .value_kind:     hidden_grid_dims
    .group_segment_fixed_size: 20480
    .kernarg_segment_align: 8
    .kernarg_segment_size: 392
    .language:       OpenCL C
    .language_version:
      - 2
      - 0
    .max_flat_workgroup_size: 1024
    .name:           _ZN9rocsolver6v33100L16mfma_gemm_kernelI19rocblas_complex_numIfEiS3_PS3_S4_S4_EEv18rocblas_operation_S5_T0_S6_S6_T1_T2_lS6_S6_lT3_lS6_S6_lS7_T4_lS6_S6_l
    .private_segment_fixed_size: 0
    .sgpr_count:     44
    .sgpr_spill_count: 0
    .symbol:         _ZN9rocsolver6v33100L16mfma_gemm_kernelI19rocblas_complex_numIfEiS3_PS3_S4_S4_EEv18rocblas_operation_S5_T0_S6_S6_T1_T2_lS6_S6_lT3_lS6_S6_lS7_T4_lS6_S6_l.kd
    .uniform_work_group_size: 1
    .uses_dynamic_stack: false
    .vgpr_count:     50
    .vgpr_spill_count: 0
    .wavefront_size: 64
  - .agpr_count:     0
    .args:
      - .offset:         0
        .size:           4
        .value_kind:     by_value
      - .offset:         4
        .size:           4
        .value_kind:     by_value
      - .offset:         8
        .size:           4
        .value_kind:     by_value
      - .address_space:  global
        .offset:         16
        .size:           8
        .value_kind:     global_buffer
      - .offset:         24
        .size:           1
        .value_kind:     by_value
      - .address_space:  global
        .offset:         32
        .size:           8
        .value_kind:     global_buffer
      - .offset:         40
        .size:           8
        .value_kind:     by_value
      - .offset:         48
        .size:           4
        .value_kind:     by_value
      - .offset:         52
        .size:           4
        .value_kind:     by_value
      - .offset:         56
        .size:           8
        .value_kind:     by_value
      - .offset:         64
        .size:           1
        .value_kind:     by_value
      - .address_space:  global
        .offset:         72
        .size:           8
        .value_kind:     global_buffer
      - .offset:         80
        .size:           8
        .value_kind:     by_value
      - .offset:         88
        .size:           4
        .value_kind:     by_value
      - .offset:         92
        .size:           4
        .value_kind:     by_value
      - .offset:         96
        .size:           8
        .value_kind:     by_value
      - .address_space:  global
        .offset:         104
        .size:           8
        .value_kind:     global_buffer
      - .address_space:  global
        .offset:         112
        .size:           8
        .value_kind:     global_buffer
      - .offset:         120
        .size:           8
        .value_kind:     by_value
      - .offset:         128
        .size:           4
        .value_kind:     by_value
      - .offset:         132
        .size:           4
        .value_kind:     by_value
      - .offset:         136
        .size:           8
        .value_kind:     by_value
      - .offset:         144
        .size:           4
        .value_kind:     hidden_block_count_x
      - .offset:         148
        .size:           4
        .value_kind:     hidden_block_count_y
      - .offset:         152
        .size:           4
        .value_kind:     hidden_block_count_z
      - .offset:         156
        .size:           2
        .value_kind:     hidden_group_size_x
      - .offset:         158
        .size:           2
        .value_kind:     hidden_group_size_y
      - .offset:         160
        .size:           2
        .value_kind:     hidden_group_size_z
      - .offset:         162
        .size:           2
        .value_kind:     hidden_remainder_x
      - .offset:         164
        .size:           2
        .value_kind:     hidden_remainder_y
      - .offset:         166
        .size:           2
        .value_kind:     hidden_remainder_z
      - .offset:         184
        .size:           8
        .value_kind:     hidden_global_offset_x
      - .offset:         192
        .size:           8
        .value_kind:     hidden_global_offset_y
      - .offset:         200
        .size:           8
        .value_kind:     hidden_global_offset_z
      - .offset:         208
        .size:           2
        .value_kind:     hidden_grid_dims
    .group_segment_fixed_size: 0
    .kernarg_segment_align: 8
    .kernarg_segment_size: 400
    .language:       OpenCL C
    .language_version:
      - 2
      - 0
    .max_flat_workgroup_size: 1024
    .name:           _ZN9rocsolver6v33100L11gemm_kernelI19rocblas_complex_numIfEiPKS3_PS3_S6_S6_EEvT0_S7_S7_T1_bT2_lS7_S7_lbT3_lS7_S7_lS8_T4_lS7_S7_l
    .private_segment_fixed_size: 0
    .sgpr_count:     44
    .sgpr_spill_count: 0
    .symbol:         _ZN9rocsolver6v33100L11gemm_kernelI19rocblas_complex_numIfEiPKS3_PS3_S6_S6_EEvT0_S7_S7_T1_bT2_lS7_S7_lbT3_lS7_S7_lS8_T4_lS7_S7_l.kd
    .uniform_work_group_size: 1
    .uses_dynamic_stack: false
    .vgpr_count:     14
    .vgpr_spill_count: 0
    .wavefront_size: 64
  - .agpr_count:     0
    .args:
      - .offset:         0
        .size:           4
        .value_kind:     by_value
      - .offset:         4
        .size:           4
        .value_kind:     by_value
      - .offset:         8
        .size:           4
        .value_kind:     by_value
      - .offset:         12
        .size:           8
        .value_kind:     by_value
      - .offset:         20
        .size:           1
        .value_kind:     by_value
      - .address_space:  global
        .offset:         24
        .size:           8
        .value_kind:     global_buffer
      - .offset:         32
        .size:           8
        .value_kind:     by_value
      - .offset:         40
        .size:           4
        .value_kind:     by_value
      - .offset:         44
        .size:           4
        .value_kind:     by_value
      - .offset:         48
        .size:           8
        .value_kind:     by_value
      - .offset:         56
        .size:           1
        .value_kind:     by_value
      - .address_space:  global
        .offset:         64
        .size:           8
        .value_kind:     global_buffer
      - .offset:         72
        .size:           8
        .value_kind:     by_value
      - .offset:         80
        .size:           4
        .value_kind:     by_value
      - .offset:         84
        .size:           4
        .value_kind:     by_value
      - .offset:         88
        .size:           8
        .value_kind:     by_value
      - .offset:         96
        .size:           8
        .value_kind:     by_value
      - .address_space:  global
        .offset:         104
        .size:           8
        .value_kind:     global_buffer
      - .offset:         112
        .size:           8
        .value_kind:     by_value
      - .offset:         120
        .size:           4
        .value_kind:     by_value
      - .offset:         124
        .size:           4
        .value_kind:     by_value
      - .offset:         128
        .size:           8
        .value_kind:     by_value
      - .offset:         136
        .size:           4
        .value_kind:     hidden_block_count_x
      - .offset:         140
        .size:           4
        .value_kind:     hidden_block_count_y
      - .offset:         144
        .size:           4
        .value_kind:     hidden_block_count_z
      - .offset:         148
        .size:           2
        .value_kind:     hidden_group_size_x
      - .offset:         150
        .size:           2
        .value_kind:     hidden_group_size_y
      - .offset:         152
        .size:           2
        .value_kind:     hidden_group_size_z
      - .offset:         154
        .size:           2
        .value_kind:     hidden_remainder_x
      - .offset:         156
        .size:           2
        .value_kind:     hidden_remainder_y
      - .offset:         158
        .size:           2
        .value_kind:     hidden_remainder_z
      - .offset:         176
        .size:           8
        .value_kind:     hidden_global_offset_x
      - .offset:         184
        .size:           8
        .value_kind:     hidden_global_offset_y
      - .offset:         192
        .size:           8
        .value_kind:     hidden_global_offset_z
      - .offset:         200
        .size:           2
        .value_kind:     hidden_grid_dims
    .group_segment_fixed_size: 0
    .kernarg_segment_align: 8
    .kernarg_segment_size: 392
    .language:       OpenCL C
    .language_version:
      - 2
      - 0
    .max_flat_workgroup_size: 1024
    .name:           _ZN9rocsolver6v33100L11gemm_kernelI19rocblas_complex_numIfEiS3_PS3_S4_S4_EEvT0_S5_S5_T1_bT2_lS5_S5_lbT3_lS5_S5_lS6_T4_lS5_S5_l
    .private_segment_fixed_size: 0
    .sgpr_count:     34
    .sgpr_spill_count: 0
    .symbol:         _ZN9rocsolver6v33100L11gemm_kernelI19rocblas_complex_numIfEiS3_PS3_S4_S4_EEvT0_S5_S5_T1_bT2_lS5_S5_lbT3_lS5_S5_lS6_T4_lS5_S5_l.kd
    .uniform_work_group_size: 1
    .uses_dynamic_stack: false
    .vgpr_count:     14
    .vgpr_spill_count: 0
    .wavefront_size: 64
  - .agpr_count:     0
    .args:
      - .offset:         0
        .size:           4
        .value_kind:     by_value
      - .offset:         4
        .size:           4
        .value_kind:     by_value
      - .offset:         8
        .size:           4
        .value_kind:     by_value
      - .offset:         12
        .size:           4
        .value_kind:     by_value
      - .offset:         16
        .size:           4
        .value_kind:     by_value
      - .address_space:  global
        .offset:         24
        .size:           8
        .value_kind:     global_buffer
      - .address_space:  global
        .offset:         32
        .size:           8
        .value_kind:     global_buffer
      - .offset:         40
        .size:           8
        .value_kind:     by_value
      - .offset:         48
        .size:           4
        .value_kind:     by_value
      - .offset:         52
        .size:           4
        .value_kind:     by_value
      - .offset:         56
        .size:           8
        .value_kind:     by_value
      - .address_space:  global
        .offset:         64
        .size:           8
        .value_kind:     global_buffer
      - .offset:         72
        .size:           8
        .value_kind:     by_value
      - .offset:         80
        .size:           4
        .value_kind:     by_value
      - .offset:         84
        .size:           4
        .value_kind:     by_value
      - .offset:         88
        .size:           8
        .value_kind:     by_value
      - .address_space:  global
        .offset:         96
        .size:           8
        .value_kind:     global_buffer
      - .address_space:  global
        .offset:         104
        .size:           8
        .value_kind:     global_buffer
      - .offset:         112
        .size:           8
        .value_kind:     by_value
      - .offset:         120
        .size:           4
        .value_kind:     by_value
      - .offset:         124
        .size:           4
        .value_kind:     by_value
      - .offset:         128
        .size:           8
        .value_kind:     by_value
      - .offset:         136
        .size:           4
        .value_kind:     hidden_block_count_x
      - .offset:         140
        .size:           4
        .value_kind:     hidden_block_count_y
      - .offset:         144
        .size:           4
        .value_kind:     hidden_block_count_z
      - .offset:         148
        .size:           2
        .value_kind:     hidden_group_size_x
      - .offset:         150
        .size:           2
        .value_kind:     hidden_group_size_y
      - .offset:         152
        .size:           2
        .value_kind:     hidden_group_size_z
      - .offset:         154
        .size:           2
        .value_kind:     hidden_remainder_x
      - .offset:         156
        .size:           2
        .value_kind:     hidden_remainder_y
      - .offset:         158
        .size:           2
        .value_kind:     hidden_remainder_z
      - .offset:         176
        .size:           8
        .value_kind:     hidden_global_offset_x
      - .offset:         184
        .size:           8
        .value_kind:     hidden_global_offset_y
      - .offset:         192
        .size:           8
        .value_kind:     hidden_global_offset_z
      - .offset:         200
        .size:           2
        .value_kind:     hidden_grid_dims
    .group_segment_fixed_size: 20480
    .kernarg_segment_align: 8
    .kernarg_segment_size: 392
    .language:       OpenCL C
    .language_version:
      - 2
      - 0
    .max_flat_workgroup_size: 1024
    .name:           _ZN9rocsolver6v33100L16mfma_gemm_kernelI19rocblas_complex_numIfEiPKS3_PKPS3_S8_S8_EEv18rocblas_operation_S9_T0_SA_SA_T1_T2_lSA_SA_lT3_lSA_SA_lSB_T4_lSA_SA_l
    .private_segment_fixed_size: 0
    .sgpr_count:     41
    .sgpr_spill_count: 0
    .symbol:         _ZN9rocsolver6v33100L16mfma_gemm_kernelI19rocblas_complex_numIfEiPKS3_PKPS3_S8_S8_EEv18rocblas_operation_S9_T0_SA_SA_T1_T2_lSA_SA_lT3_lSA_SA_lSB_T4_lSA_SA_l.kd
    .uniform_work_group_size: 1
    .uses_dynamic_stack: false
    .vgpr_count:     50
    .vgpr_spill_count: 0
    .wavefront_size: 64
  - .agpr_count:     0
    .args:
      - .offset:         0
        .size:           4
        .value_kind:     by_value
      - .offset:         4
        .size:           4
        .value_kind:     by_value
      - .offset:         8
        .size:           4
        .value_kind:     by_value
      - .offset:         12
        .size:           4
        .value_kind:     by_value
      - .offset:         16
        .size:           4
        .value_kind:     by_value
      - .offset:         20
        .size:           8
        .value_kind:     by_value
      - .address_space:  global
        .offset:         32
        .size:           8
        .value_kind:     global_buffer
      - .offset:         40
        .size:           8
        .value_kind:     by_value
      - .offset:         48
        .size:           4
        .value_kind:     by_value
      - .offset:         52
        .size:           4
        .value_kind:     by_value
      - .offset:         56
        .size:           8
        .value_kind:     by_value
      - .address_space:  global
        .offset:         64
        .size:           8
        .value_kind:     global_buffer
      - .offset:         72
        .size:           8
        .value_kind:     by_value
      - .offset:         80
        .size:           4
        .value_kind:     by_value
      - .offset:         84
        .size:           4
        .value_kind:     by_value
      - .offset:         88
        .size:           8
        .value_kind:     by_value
      - .offset:         96
        .size:           8
        .value_kind:     by_value
      - .address_space:  global
        .offset:         104
        .size:           8
        .value_kind:     global_buffer
      - .offset:         112
        .size:           8
        .value_kind:     by_value
      - .offset:         120
        .size:           4
        .value_kind:     by_value
      - .offset:         124
        .size:           4
        .value_kind:     by_value
      - .offset:         128
        .size:           8
        .value_kind:     by_value
      - .offset:         136
        .size:           4
        .value_kind:     hidden_block_count_x
      - .offset:         140
        .size:           4
        .value_kind:     hidden_block_count_y
      - .offset:         144
        .size:           4
        .value_kind:     hidden_block_count_z
      - .offset:         148
        .size:           2
        .value_kind:     hidden_group_size_x
      - .offset:         150
        .size:           2
        .value_kind:     hidden_group_size_y
      - .offset:         152
        .size:           2
        .value_kind:     hidden_group_size_z
      - .offset:         154
        .size:           2
        .value_kind:     hidden_remainder_x
      - .offset:         156
        .size:           2
        .value_kind:     hidden_remainder_y
      - .offset:         158
        .size:           2
        .value_kind:     hidden_remainder_z
      - .offset:         176
        .size:           8
        .value_kind:     hidden_global_offset_x
      - .offset:         184
        .size:           8
        .value_kind:     hidden_global_offset_y
      - .offset:         192
        .size:           8
        .value_kind:     hidden_global_offset_z
      - .offset:         200
        .size:           2
        .value_kind:     hidden_grid_dims
    .group_segment_fixed_size: 20480
    .kernarg_segment_align: 8
    .kernarg_segment_size: 392
    .language:       OpenCL C
    .language_version:
      - 2
      - 0
    .max_flat_workgroup_size: 1024
    .name:           _ZN9rocsolver6v33100L16mfma_gemm_kernelI19rocblas_complex_numIfEiS3_PKPS3_S6_S6_EEv18rocblas_operation_S7_T0_S8_S8_T1_T2_lS8_S8_lT3_lS8_S8_lS9_T4_lS8_S8_l
    .private_segment_fixed_size: 0
    .sgpr_count:     44
    .sgpr_spill_count: 0
    .symbol:         _ZN9rocsolver6v33100L16mfma_gemm_kernelI19rocblas_complex_numIfEiS3_PKPS3_S6_S6_EEv18rocblas_operation_S7_T0_S8_S8_T1_T2_lS8_S8_lT3_lS8_S8_lS9_T4_lS8_S8_l.kd
    .uniform_work_group_size: 1
    .uses_dynamic_stack: false
    .vgpr_count:     50
    .vgpr_spill_count: 0
    .wavefront_size: 64
  - .agpr_count:     0
    .args:
      - .offset:         0
        .size:           4
        .value_kind:     by_value
      - .offset:         4
        .size:           4
        .value_kind:     by_value
      - .offset:         8
        .size:           4
        .value_kind:     by_value
      - .address_space:  global
        .offset:         16
        .size:           8
        .value_kind:     global_buffer
      - .offset:         24
        .size:           1
        .value_kind:     by_value
      - .address_space:  global
        .offset:         32
        .size:           8
        .value_kind:     global_buffer
      - .offset:         40
        .size:           8
        .value_kind:     by_value
      - .offset:         48
        .size:           4
        .value_kind:     by_value
      - .offset:         52
        .size:           4
        .value_kind:     by_value
      - .offset:         56
        .size:           8
        .value_kind:     by_value
      - .offset:         64
        .size:           1
        .value_kind:     by_value
      - .address_space:  global
        .offset:         72
        .size:           8
        .value_kind:     global_buffer
      - .offset:         80
        .size:           8
        .value_kind:     by_value
      - .offset:         88
        .size:           4
        .value_kind:     by_value
      - .offset:         92
        .size:           4
        .value_kind:     by_value
      - .offset:         96
        .size:           8
        .value_kind:     by_value
      - .address_space:  global
        .offset:         104
        .size:           8
        .value_kind:     global_buffer
      - .address_space:  global
        .offset:         112
        .size:           8
        .value_kind:     global_buffer
      - .offset:         120
        .size:           8
        .value_kind:     by_value
      - .offset:         128
        .size:           4
        .value_kind:     by_value
      - .offset:         132
        .size:           4
        .value_kind:     by_value
      - .offset:         136
        .size:           8
        .value_kind:     by_value
      - .offset:         144
        .size:           4
        .value_kind:     hidden_block_count_x
      - .offset:         148
        .size:           4
        .value_kind:     hidden_block_count_y
      - .offset:         152
        .size:           4
        .value_kind:     hidden_block_count_z
      - .offset:         156
        .size:           2
        .value_kind:     hidden_group_size_x
      - .offset:         158
        .size:           2
        .value_kind:     hidden_group_size_y
      - .offset:         160
        .size:           2
        .value_kind:     hidden_group_size_z
      - .offset:         162
        .size:           2
        .value_kind:     hidden_remainder_x
      - .offset:         164
        .size:           2
        .value_kind:     hidden_remainder_y
      - .offset:         166
        .size:           2
        .value_kind:     hidden_remainder_z
      - .offset:         184
        .size:           8
        .value_kind:     hidden_global_offset_x
      - .offset:         192
        .size:           8
        .value_kind:     hidden_global_offset_y
      - .offset:         200
        .size:           8
        .value_kind:     hidden_global_offset_z
      - .offset:         208
        .size:           2
        .value_kind:     hidden_grid_dims
    .group_segment_fixed_size: 0
    .kernarg_segment_align: 8
    .kernarg_segment_size: 400
    .language:       OpenCL C
    .language_version:
      - 2
      - 0
    .max_flat_workgroup_size: 1024
    .name:           _ZN9rocsolver6v33100L11gemm_kernelI19rocblas_complex_numIfEiPKS3_PKPS3_S8_S8_EEvT0_S9_S9_T1_bT2_lS9_S9_lbT3_lS9_S9_lSA_T4_lS9_S9_l
    .private_segment_fixed_size: 0
    .sgpr_count:     33
    .sgpr_spill_count: 0
    .symbol:         _ZN9rocsolver6v33100L11gemm_kernelI19rocblas_complex_numIfEiPKS3_PKPS3_S8_S8_EEvT0_S9_S9_T1_bT2_lS9_S9_lbT3_lS9_S9_lSA_T4_lS9_S9_l.kd
    .uniform_work_group_size: 1
    .uses_dynamic_stack: false
    .vgpr_count:     14
    .vgpr_spill_count: 0
    .wavefront_size: 64
  - .agpr_count:     0
    .args:
      - .offset:         0
        .size:           4
        .value_kind:     by_value
      - .offset:         4
        .size:           4
        .value_kind:     by_value
      - .offset:         8
        .size:           4
        .value_kind:     by_value
      - .offset:         12
        .size:           8
        .value_kind:     by_value
      - .offset:         20
        .size:           1
        .value_kind:     by_value
      - .address_space:  global
        .offset:         24
        .size:           8
        .value_kind:     global_buffer
      - .offset:         32
        .size:           8
        .value_kind:     by_value
      - .offset:         40
        .size:           4
        .value_kind:     by_value
      - .offset:         44
        .size:           4
        .value_kind:     by_value
      - .offset:         48
        .size:           8
        .value_kind:     by_value
      - .offset:         56
        .size:           1
        .value_kind:     by_value
      - .address_space:  global
        .offset:         64
        .size:           8
        .value_kind:     global_buffer
      - .offset:         72
        .size:           8
        .value_kind:     by_value
      - .offset:         80
        .size:           4
        .value_kind:     by_value
      - .offset:         84
        .size:           4
        .value_kind:     by_value
      - .offset:         88
        .size:           8
        .value_kind:     by_value
      - .offset:         96
        .size:           8
        .value_kind:     by_value
      - .address_space:  global
        .offset:         104
        .size:           8
        .value_kind:     global_buffer
      - .offset:         112
        .size:           8
        .value_kind:     by_value
      - .offset:         120
        .size:           4
        .value_kind:     by_value
      - .offset:         124
        .size:           4
        .value_kind:     by_value
      - .offset:         128
        .size:           8
        .value_kind:     by_value
      - .offset:         136
        .size:           4
        .value_kind:     hidden_block_count_x
      - .offset:         140
        .size:           4
        .value_kind:     hidden_block_count_y
      - .offset:         144
        .size:           4
        .value_kind:     hidden_block_count_z
      - .offset:         148
        .size:           2
        .value_kind:     hidden_group_size_x
      - .offset:         150
        .size:           2
        .value_kind:     hidden_group_size_y
      - .offset:         152
        .size:           2
        .value_kind:     hidden_group_size_z
      - .offset:         154
        .size:           2
        .value_kind:     hidden_remainder_x
      - .offset:         156
        .size:           2
        .value_kind:     hidden_remainder_y
      - .offset:         158
        .size:           2
        .value_kind:     hidden_remainder_z
      - .offset:         176
        .size:           8
        .value_kind:     hidden_global_offset_x
      - .offset:         184
        .size:           8
        .value_kind:     hidden_global_offset_y
      - .offset:         192
        .size:           8
        .value_kind:     hidden_global_offset_z
      - .offset:         200
        .size:           2
        .value_kind:     hidden_grid_dims
    .group_segment_fixed_size: 0
    .kernarg_segment_align: 8
    .kernarg_segment_size: 392
    .language:       OpenCL C
    .language_version:
      - 2
      - 0
    .max_flat_workgroup_size: 1024
    .name:           _ZN9rocsolver6v33100L11gemm_kernelI19rocblas_complex_numIfEiS3_PKPS3_S6_S6_EEvT0_S7_S7_T1_bT2_lS7_S7_lbT3_lS7_S7_lS8_T4_lS7_S7_l
    .private_segment_fixed_size: 0
    .sgpr_count:     33
    .sgpr_spill_count: 0
    .symbol:         _ZN9rocsolver6v33100L11gemm_kernelI19rocblas_complex_numIfEiS3_PKPS3_S6_S6_EEvT0_S7_S7_T1_bT2_lS7_S7_lbT3_lS7_S7_lS8_T4_lS7_S7_l.kd
    .uniform_work_group_size: 1
    .uses_dynamic_stack: false
    .vgpr_count:     14
    .vgpr_spill_count: 0
    .wavefront_size: 64
  - .agpr_count:     0
    .args:
      - .address_space:  global
        .offset:         0
        .size:           8
        .value_kind:     global_buffer
      - .address_space:  global
        .offset:         8
        .size:           8
        .value_kind:     global_buffer
      - .offset:         16
        .size:           8
        .value_kind:     by_value
      - .offset:         24
        .size:           4
        .value_kind:     by_value
      - .offset:         32
        .size:           4
        .value_kind:     hidden_block_count_x
      - .offset:         36
        .size:           4
        .value_kind:     hidden_block_count_y
      - .offset:         40
        .size:           4
        .value_kind:     hidden_block_count_z
      - .offset:         44
        .size:           2
        .value_kind:     hidden_group_size_x
      - .offset:         46
        .size:           2
        .value_kind:     hidden_group_size_y
      - .offset:         48
        .size:           2
        .value_kind:     hidden_group_size_z
      - .offset:         50
        .size:           2
        .value_kind:     hidden_remainder_x
      - .offset:         52
        .size:           2
        .value_kind:     hidden_remainder_y
      - .offset:         54
        .size:           2
        .value_kind:     hidden_remainder_z
      - .offset:         72
        .size:           8
        .value_kind:     hidden_global_offset_x
      - .offset:         80
        .size:           8
        .value_kind:     hidden_global_offset_y
      - .offset:         88
        .size:           8
        .value_kind:     hidden_global_offset_z
      - .offset:         96
        .size:           2
        .value_kind:     hidden_grid_dims
    .group_segment_fixed_size: 0
    .kernarg_segment_align: 8
    .kernarg_segment_size: 288
    .language:       OpenCL C
    .language_version:
      - 2
      - 0
    .max_flat_workgroup_size: 1024
    .name:           _ZN9rocsolver6v33100L9get_arrayI19rocblas_complex_numIfEiEEvPPT_S5_lT0_
    .private_segment_fixed_size: 0
    .sgpr_count:     12
    .sgpr_spill_count: 0
    .symbol:         _ZN9rocsolver6v33100L9get_arrayI19rocblas_complex_numIfEiEEvPPT_S5_lT0_.kd
    .uniform_work_group_size: 1
    .uses_dynamic_stack: false
    .vgpr_count:     6
    .vgpr_spill_count: 0
    .wavefront_size: 64
  - .agpr_count:     0
    .args:
      - .offset:         0
        .size:           4
        .value_kind:     by_value
      - .offset:         4
        .size:           4
        .value_kind:     by_value
      - .offset:         8
        .size:           4
        .value_kind:     by_value
      - .offset:         12
        .size:           4
        .value_kind:     by_value
      - .offset:         16
        .size:           4
        .value_kind:     by_value
      - .address_space:  global
        .offset:         24
        .size:           8
        .value_kind:     global_buffer
      - .address_space:  global
        .offset:         32
        .size:           8
        .value_kind:     global_buffer
      - .offset:         40
        .size:           8
        .value_kind:     by_value
      - .offset:         48
        .size:           4
        .value_kind:     by_value
      - .offset:         52
        .size:           4
        .value_kind:     by_value
      - .offset:         56
        .size:           8
        .value_kind:     by_value
      - .address_space:  global
        .offset:         64
        .size:           8
        .value_kind:     global_buffer
      - .offset:         72
        .size:           8
        .value_kind:     by_value
      - .offset:         80
        .size:           4
        .value_kind:     by_value
      - .offset:         84
        .size:           4
        .value_kind:     by_value
      - .offset:         88
        .size:           8
        .value_kind:     by_value
      - .address_space:  global
        .offset:         96
        .size:           8
        .value_kind:     global_buffer
      - .address_space:  global
        .offset:         104
        .size:           8
        .value_kind:     global_buffer
      - .offset:         112
        .size:           8
        .value_kind:     by_value
      - .offset:         120
        .size:           4
        .value_kind:     by_value
      - .offset:         124
        .size:           4
        .value_kind:     by_value
      - .offset:         128
        .size:           8
        .value_kind:     by_value
      - .offset:         136
        .size:           4
        .value_kind:     hidden_block_count_x
      - .offset:         140
        .size:           4
        .value_kind:     hidden_block_count_y
      - .offset:         144
        .size:           4
        .value_kind:     hidden_block_count_z
      - .offset:         148
        .size:           2
        .value_kind:     hidden_group_size_x
      - .offset:         150
        .size:           2
        .value_kind:     hidden_group_size_y
      - .offset:         152
        .size:           2
        .value_kind:     hidden_group_size_z
      - .offset:         154
        .size:           2
        .value_kind:     hidden_remainder_x
      - .offset:         156
        .size:           2
        .value_kind:     hidden_remainder_y
      - .offset:         158
        .size:           2
        .value_kind:     hidden_remainder_z
      - .offset:         176
        .size:           8
        .value_kind:     hidden_global_offset_x
      - .offset:         184
        .size:           8
        .value_kind:     hidden_global_offset_y
      - .offset:         192
        .size:           8
        .value_kind:     hidden_global_offset_z
      - .offset:         200
        .size:           2
        .value_kind:     hidden_grid_dims
    .group_segment_fixed_size: 20480
    .kernarg_segment_align: 8
    .kernarg_segment_size: 392
    .language:       OpenCL C
    .language_version:
      - 2
      - 0
    .max_flat_workgroup_size: 1024
    .name:           _ZN9rocsolver6v33100L16mfma_gemm_kernelI19rocblas_complex_numIfEiPKS3_PS3_PKS6_S8_EEv18rocblas_operation_S9_T0_SA_SA_T1_T2_lSA_SA_lT3_lSA_SA_lSB_T4_lSA_SA_l
    .private_segment_fixed_size: 0
    .sgpr_count:     41
    .sgpr_spill_count: 0
    .symbol:         _ZN9rocsolver6v33100L16mfma_gemm_kernelI19rocblas_complex_numIfEiPKS3_PS3_PKS6_S8_EEv18rocblas_operation_S9_T0_SA_SA_T1_T2_lSA_SA_lT3_lSA_SA_lSB_T4_lSA_SA_l.kd
    .uniform_work_group_size: 1
    .uses_dynamic_stack: false
    .vgpr_count:     50
    .vgpr_spill_count: 0
    .wavefront_size: 64
  - .agpr_count:     0
    .args:
      - .offset:         0
        .size:           4
        .value_kind:     by_value
      - .offset:         4
        .size:           4
        .value_kind:     by_value
      - .offset:         8
        .size:           4
        .value_kind:     by_value
      - .offset:         12
        .size:           4
        .value_kind:     by_value
      - .offset:         16
        .size:           4
        .value_kind:     by_value
      - .offset:         20
        .size:           8
        .value_kind:     by_value
      - .address_space:  global
        .offset:         32
        .size:           8
        .value_kind:     global_buffer
      - .offset:         40
        .size:           8
        .value_kind:     by_value
      - .offset:         48
        .size:           4
        .value_kind:     by_value
      - .offset:         52
        .size:           4
        .value_kind:     by_value
      - .offset:         56
        .size:           8
        .value_kind:     by_value
      - .address_space:  global
        .offset:         64
        .size:           8
        .value_kind:     global_buffer
      - .offset:         72
        .size:           8
        .value_kind:     by_value
      - .offset:         80
        .size:           4
        .value_kind:     by_value
      - .offset:         84
        .size:           4
        .value_kind:     by_value
      - .offset:         88
        .size:           8
        .value_kind:     by_value
      - .offset:         96
        .size:           8
        .value_kind:     by_value
      - .address_space:  global
        .offset:         104
        .size:           8
        .value_kind:     global_buffer
      - .offset:         112
        .size:           8
        .value_kind:     by_value
      - .offset:         120
        .size:           4
        .value_kind:     by_value
      - .offset:         124
        .size:           4
        .value_kind:     by_value
      - .offset:         128
        .size:           8
        .value_kind:     by_value
      - .offset:         136
        .size:           4
        .value_kind:     hidden_block_count_x
      - .offset:         140
        .size:           4
        .value_kind:     hidden_block_count_y
      - .offset:         144
        .size:           4
        .value_kind:     hidden_block_count_z
      - .offset:         148
        .size:           2
        .value_kind:     hidden_group_size_x
      - .offset:         150
        .size:           2
        .value_kind:     hidden_group_size_y
      - .offset:         152
        .size:           2
        .value_kind:     hidden_group_size_z
      - .offset:         154
        .size:           2
        .value_kind:     hidden_remainder_x
      - .offset:         156
        .size:           2
        .value_kind:     hidden_remainder_y
      - .offset:         158
        .size:           2
        .value_kind:     hidden_remainder_z
      - .offset:         176
        .size:           8
        .value_kind:     hidden_global_offset_x
      - .offset:         184
        .size:           8
        .value_kind:     hidden_global_offset_y
      - .offset:         192
        .size:           8
        .value_kind:     hidden_global_offset_z
      - .offset:         200
        .size:           2
        .value_kind:     hidden_grid_dims
    .group_segment_fixed_size: 20480
    .kernarg_segment_align: 8
    .kernarg_segment_size: 392
    .language:       OpenCL C
    .language_version:
      - 2
      - 0
    .max_flat_workgroup_size: 1024
    .name:           _ZN9rocsolver6v33100L16mfma_gemm_kernelI19rocblas_complex_numIfEiS3_PS3_PKS4_S6_EEv18rocblas_operation_S7_T0_S8_S8_T1_T2_lS8_S8_lT3_lS8_S8_lS9_T4_lS8_S8_l
    .private_segment_fixed_size: 0
    .sgpr_count:     46
    .sgpr_spill_count: 0
    .symbol:         _ZN9rocsolver6v33100L16mfma_gemm_kernelI19rocblas_complex_numIfEiS3_PS3_PKS4_S6_EEv18rocblas_operation_S7_T0_S8_S8_T1_T2_lS8_S8_lT3_lS8_S8_lS9_T4_lS8_S8_l.kd
    .uniform_work_group_size: 1
    .uses_dynamic_stack: false
    .vgpr_count:     50
    .vgpr_spill_count: 0
    .wavefront_size: 64
  - .agpr_count:     0
    .args:
      - .offset:         0
        .size:           4
        .value_kind:     by_value
      - .offset:         4
        .size:           4
        .value_kind:     by_value
      - .offset:         8
        .size:           4
        .value_kind:     by_value
      - .address_space:  global
        .offset:         16
        .size:           8
        .value_kind:     global_buffer
      - .offset:         24
        .size:           1
        .value_kind:     by_value
      - .address_space:  global
        .offset:         32
        .size:           8
        .value_kind:     global_buffer
      - .offset:         40
        .size:           8
        .value_kind:     by_value
      - .offset:         48
        .size:           4
        .value_kind:     by_value
      - .offset:         52
        .size:           4
        .value_kind:     by_value
      - .offset:         56
        .size:           8
        .value_kind:     by_value
      - .offset:         64
        .size:           1
        .value_kind:     by_value
      - .address_space:  global
        .offset:         72
        .size:           8
        .value_kind:     global_buffer
      - .offset:         80
        .size:           8
        .value_kind:     by_value
      - .offset:         88
        .size:           4
        .value_kind:     by_value
      - .offset:         92
        .size:           4
        .value_kind:     by_value
      - .offset:         96
        .size:           8
        .value_kind:     by_value
      - .address_space:  global
        .offset:         104
        .size:           8
        .value_kind:     global_buffer
      - .address_space:  global
        .offset:         112
        .size:           8
        .value_kind:     global_buffer
      - .offset:         120
        .size:           8
        .value_kind:     by_value
      - .offset:         128
        .size:           4
        .value_kind:     by_value
      - .offset:         132
        .size:           4
        .value_kind:     by_value
      - .offset:         136
        .size:           8
        .value_kind:     by_value
      - .offset:         144
        .size:           4
        .value_kind:     hidden_block_count_x
      - .offset:         148
        .size:           4
        .value_kind:     hidden_block_count_y
      - .offset:         152
        .size:           4
        .value_kind:     hidden_block_count_z
      - .offset:         156
        .size:           2
        .value_kind:     hidden_group_size_x
      - .offset:         158
        .size:           2
        .value_kind:     hidden_group_size_y
      - .offset:         160
        .size:           2
        .value_kind:     hidden_group_size_z
      - .offset:         162
        .size:           2
        .value_kind:     hidden_remainder_x
      - .offset:         164
        .size:           2
        .value_kind:     hidden_remainder_y
      - .offset:         166
        .size:           2
        .value_kind:     hidden_remainder_z
      - .offset:         184
        .size:           8
        .value_kind:     hidden_global_offset_x
      - .offset:         192
        .size:           8
        .value_kind:     hidden_global_offset_y
      - .offset:         200
        .size:           8
        .value_kind:     hidden_global_offset_z
      - .offset:         208
        .size:           2
        .value_kind:     hidden_grid_dims
    .group_segment_fixed_size: 0
    .kernarg_segment_align: 8
    .kernarg_segment_size: 400
    .language:       OpenCL C
    .language_version:
      - 2
      - 0
    .max_flat_workgroup_size: 1024
    .name:           _ZN9rocsolver6v33100L11gemm_kernelI19rocblas_complex_numIfEiPKS3_PS3_PKS6_S8_EEvT0_S9_S9_T1_bT2_lS9_S9_lbT3_lS9_S9_lSA_T4_lS9_S9_l
    .private_segment_fixed_size: 0
    .sgpr_count:     36
    .sgpr_spill_count: 0
    .symbol:         _ZN9rocsolver6v33100L11gemm_kernelI19rocblas_complex_numIfEiPKS3_PS3_PKS6_S8_EEvT0_S9_S9_T1_bT2_lS9_S9_lbT3_lS9_S9_lSA_T4_lS9_S9_l.kd
    .uniform_work_group_size: 1
    .uses_dynamic_stack: false
    .vgpr_count:     14
    .vgpr_spill_count: 0
    .wavefront_size: 64
  - .agpr_count:     0
    .args:
      - .offset:         0
        .size:           4
        .value_kind:     by_value
      - .offset:         4
        .size:           4
        .value_kind:     by_value
      - .offset:         8
        .size:           4
        .value_kind:     by_value
      - .offset:         12
        .size:           8
        .value_kind:     by_value
      - .offset:         20
        .size:           1
        .value_kind:     by_value
      - .address_space:  global
        .offset:         24
        .size:           8
        .value_kind:     global_buffer
      - .offset:         32
        .size:           8
        .value_kind:     by_value
      - .offset:         40
        .size:           4
        .value_kind:     by_value
      - .offset:         44
        .size:           4
        .value_kind:     by_value
      - .offset:         48
        .size:           8
        .value_kind:     by_value
      - .offset:         56
        .size:           1
        .value_kind:     by_value
      - .address_space:  global
        .offset:         64
        .size:           8
        .value_kind:     global_buffer
      - .offset:         72
        .size:           8
        .value_kind:     by_value
      - .offset:         80
        .size:           4
        .value_kind:     by_value
      - .offset:         84
        .size:           4
        .value_kind:     by_value
      - .offset:         88
        .size:           8
        .value_kind:     by_value
      - .offset:         96
        .size:           8
        .value_kind:     by_value
      - .address_space:  global
        .offset:         104
        .size:           8
        .value_kind:     global_buffer
      - .offset:         112
        .size:           8
        .value_kind:     by_value
      - .offset:         120
        .size:           4
        .value_kind:     by_value
      - .offset:         124
        .size:           4
        .value_kind:     by_value
      - .offset:         128
        .size:           8
        .value_kind:     by_value
      - .offset:         136
        .size:           4
        .value_kind:     hidden_block_count_x
      - .offset:         140
        .size:           4
        .value_kind:     hidden_block_count_y
      - .offset:         144
        .size:           4
        .value_kind:     hidden_block_count_z
      - .offset:         148
        .size:           2
        .value_kind:     hidden_group_size_x
      - .offset:         150
        .size:           2
        .value_kind:     hidden_group_size_y
      - .offset:         152
        .size:           2
        .value_kind:     hidden_group_size_z
      - .offset:         154
        .size:           2
        .value_kind:     hidden_remainder_x
      - .offset:         156
        .size:           2
        .value_kind:     hidden_remainder_y
      - .offset:         158
        .size:           2
        .value_kind:     hidden_remainder_z
      - .offset:         176
        .size:           8
        .value_kind:     hidden_global_offset_x
      - .offset:         184
        .size:           8
        .value_kind:     hidden_global_offset_y
      - .offset:         192
        .size:           8
        .value_kind:     hidden_global_offset_z
      - .offset:         200
        .size:           2
        .value_kind:     hidden_grid_dims
    .group_segment_fixed_size: 0
    .kernarg_segment_align: 8
    .kernarg_segment_size: 392
    .language:       OpenCL C
    .language_version:
      - 2
      - 0
    .max_flat_workgroup_size: 1024
    .name:           _ZN9rocsolver6v33100L11gemm_kernelI19rocblas_complex_numIfEiS3_PS3_PKS4_S6_EEvT0_S7_S7_T1_bT2_lS7_S7_lbT3_lS7_S7_lS8_T4_lS7_S7_l
    .private_segment_fixed_size: 0
    .sgpr_count:     36
    .sgpr_spill_count: 0
    .symbol:         _ZN9rocsolver6v33100L11gemm_kernelI19rocblas_complex_numIfEiS3_PS3_PKS4_S6_EEvT0_S7_S7_T1_bT2_lS7_S7_lbT3_lS7_S7_lS8_T4_lS7_S7_l.kd
    .uniform_work_group_size: 1
    .uses_dynamic_stack: false
    .vgpr_count:     14
    .vgpr_spill_count: 0
    .wavefront_size: 64
  - .agpr_count:     0
    .args:
      - .offset:         0
        .size:           4
        .value_kind:     by_value
      - .offset:         4
        .size:           4
        .value_kind:     by_value
      - .offset:         8
        .size:           4
        .value_kind:     by_value
      - .offset:         12
        .size:           4
        .value_kind:     by_value
      - .offset:         16
        .size:           4
        .value_kind:     by_value
      - .address_space:  global
        .offset:         24
        .size:           8
        .value_kind:     global_buffer
      - .address_space:  global
        .offset:         32
        .size:           8
        .value_kind:     global_buffer
      - .offset:         40
        .size:           8
        .value_kind:     by_value
      - .offset:         48
        .size:           4
        .value_kind:     by_value
      - .offset:         52
        .size:           4
        .value_kind:     by_value
      - .offset:         56
        .size:           8
        .value_kind:     by_value
      - .address_space:  global
        .offset:         64
        .size:           8
        .value_kind:     global_buffer
      - .offset:         72
        .size:           8
        .value_kind:     by_value
      - .offset:         80
        .size:           4
        .value_kind:     by_value
      - .offset:         84
        .size:           4
        .value_kind:     by_value
      - .offset:         88
        .size:           8
        .value_kind:     by_value
      - .address_space:  global
        .offset:         96
        .size:           8
        .value_kind:     global_buffer
      - .address_space:  global
        .offset:         104
        .size:           8
        .value_kind:     global_buffer
      - .offset:         112
        .size:           8
        .value_kind:     by_value
      - .offset:         120
        .size:           4
        .value_kind:     by_value
      - .offset:         124
        .size:           4
        .value_kind:     by_value
      - .offset:         128
        .size:           8
        .value_kind:     by_value
      - .offset:         136
        .size:           4
        .value_kind:     hidden_block_count_x
      - .offset:         140
        .size:           4
        .value_kind:     hidden_block_count_y
      - .offset:         144
        .size:           4
        .value_kind:     hidden_block_count_z
      - .offset:         148
        .size:           2
        .value_kind:     hidden_group_size_x
      - .offset:         150
        .size:           2
        .value_kind:     hidden_group_size_y
      - .offset:         152
        .size:           2
        .value_kind:     hidden_group_size_z
      - .offset:         154
        .size:           2
        .value_kind:     hidden_remainder_x
      - .offset:         156
        .size:           2
        .value_kind:     hidden_remainder_y
      - .offset:         158
        .size:           2
        .value_kind:     hidden_remainder_z
      - .offset:         176
        .size:           8
        .value_kind:     hidden_global_offset_x
      - .offset:         184
        .size:           8
        .value_kind:     hidden_global_offset_y
      - .offset:         192
        .size:           8
        .value_kind:     hidden_global_offset_z
      - .offset:         200
        .size:           2
        .value_kind:     hidden_grid_dims
    .group_segment_fixed_size: 20480
    .kernarg_segment_align: 8
    .kernarg_segment_size: 392
    .language:       OpenCL C
    .language_version:
      - 2
      - 0
    .max_flat_workgroup_size: 1024
    .name:           _ZN9rocsolver6v33100L16mfma_gemm_kernelI19rocblas_complex_numIfEiPKS3_PKPS3_S6_S8_EEv18rocblas_operation_S9_T0_SA_SA_T1_T2_lSA_SA_lT3_lSA_SA_lSB_T4_lSA_SA_l
    .private_segment_fixed_size: 0
    .sgpr_count:     46
    .sgpr_spill_count: 0
    .symbol:         _ZN9rocsolver6v33100L16mfma_gemm_kernelI19rocblas_complex_numIfEiPKS3_PKPS3_S6_S8_EEv18rocblas_operation_S9_T0_SA_SA_T1_T2_lSA_SA_lT3_lSA_SA_lSB_T4_lSA_SA_l.kd
    .uniform_work_group_size: 1
    .uses_dynamic_stack: false
    .vgpr_count:     50
    .vgpr_spill_count: 0
    .wavefront_size: 64
  - .agpr_count:     0
    .args:
      - .offset:         0
        .size:           4
        .value_kind:     by_value
      - .offset:         4
        .size:           4
        .value_kind:     by_value
      - .offset:         8
        .size:           4
        .value_kind:     by_value
      - .offset:         12
        .size:           4
        .value_kind:     by_value
      - .offset:         16
        .size:           4
        .value_kind:     by_value
      - .offset:         20
        .size:           8
        .value_kind:     by_value
      - .address_space:  global
        .offset:         32
        .size:           8
        .value_kind:     global_buffer
      - .offset:         40
        .size:           8
        .value_kind:     by_value
      - .offset:         48
        .size:           4
        .value_kind:     by_value
      - .offset:         52
        .size:           4
        .value_kind:     by_value
      - .offset:         56
        .size:           8
        .value_kind:     by_value
      - .address_space:  global
        .offset:         64
        .size:           8
        .value_kind:     global_buffer
      - .offset:         72
        .size:           8
        .value_kind:     by_value
      - .offset:         80
        .size:           4
        .value_kind:     by_value
      - .offset:         84
        .size:           4
        .value_kind:     by_value
      - .offset:         88
        .size:           8
        .value_kind:     by_value
      - .offset:         96
        .size:           8
        .value_kind:     by_value
      - .address_space:  global
        .offset:         104
        .size:           8
        .value_kind:     global_buffer
      - .offset:         112
        .size:           8
        .value_kind:     by_value
      - .offset:         120
        .size:           4
        .value_kind:     by_value
      - .offset:         124
        .size:           4
        .value_kind:     by_value
      - .offset:         128
        .size:           8
        .value_kind:     by_value
      - .offset:         136
        .size:           4
        .value_kind:     hidden_block_count_x
      - .offset:         140
        .size:           4
        .value_kind:     hidden_block_count_y
      - .offset:         144
        .size:           4
        .value_kind:     hidden_block_count_z
      - .offset:         148
        .size:           2
        .value_kind:     hidden_group_size_x
      - .offset:         150
        .size:           2
        .value_kind:     hidden_group_size_y
      - .offset:         152
        .size:           2
        .value_kind:     hidden_group_size_z
      - .offset:         154
        .size:           2
        .value_kind:     hidden_remainder_x
      - .offset:         156
        .size:           2
        .value_kind:     hidden_remainder_y
      - .offset:         158
        .size:           2
        .value_kind:     hidden_remainder_z
      - .offset:         176
        .size:           8
        .value_kind:     hidden_global_offset_x
      - .offset:         184
        .size:           8
        .value_kind:     hidden_global_offset_y
      - .offset:         192
        .size:           8
        .value_kind:     hidden_global_offset_z
      - .offset:         200
        .size:           2
        .value_kind:     hidden_grid_dims
    .group_segment_fixed_size: 20480
    .kernarg_segment_align: 8
    .kernarg_segment_size: 392
    .language:       OpenCL C
    .language_version:
      - 2
      - 0
    .max_flat_workgroup_size: 1024
    .name:           _ZN9rocsolver6v33100L16mfma_gemm_kernelI19rocblas_complex_numIfEiS3_PKPS3_S4_S6_EEv18rocblas_operation_S7_T0_S8_S8_T1_T2_lS8_S8_lT3_lS8_S8_lS9_T4_lS8_S8_l
    .private_segment_fixed_size: 0
    .sgpr_count:     46
    .sgpr_spill_count: 0
    .symbol:         _ZN9rocsolver6v33100L16mfma_gemm_kernelI19rocblas_complex_numIfEiS3_PKPS3_S4_S6_EEv18rocblas_operation_S7_T0_S8_S8_T1_T2_lS8_S8_lT3_lS8_S8_lS9_T4_lS8_S8_l.kd
    .uniform_work_group_size: 1
    .uses_dynamic_stack: false
    .vgpr_count:     50
    .vgpr_spill_count: 0
    .wavefront_size: 64
  - .agpr_count:     0
    .args:
      - .offset:         0
        .size:           4
        .value_kind:     by_value
      - .offset:         4
        .size:           4
        .value_kind:     by_value
      - .offset:         8
        .size:           4
        .value_kind:     by_value
      - .address_space:  global
        .offset:         16
        .size:           8
        .value_kind:     global_buffer
      - .offset:         24
        .size:           1
        .value_kind:     by_value
      - .address_space:  global
        .offset:         32
        .size:           8
        .value_kind:     global_buffer
      - .offset:         40
        .size:           8
        .value_kind:     by_value
      - .offset:         48
        .size:           4
        .value_kind:     by_value
      - .offset:         52
        .size:           4
        .value_kind:     by_value
      - .offset:         56
        .size:           8
        .value_kind:     by_value
      - .offset:         64
        .size:           1
        .value_kind:     by_value
      - .address_space:  global
        .offset:         72
        .size:           8
        .value_kind:     global_buffer
      - .offset:         80
        .size:           8
        .value_kind:     by_value
      - .offset:         88
        .size:           4
        .value_kind:     by_value
      - .offset:         92
        .size:           4
        .value_kind:     by_value
      - .offset:         96
        .size:           8
        .value_kind:     by_value
      - .address_space:  global
        .offset:         104
        .size:           8
        .value_kind:     global_buffer
      - .address_space:  global
        .offset:         112
        .size:           8
        .value_kind:     global_buffer
      - .offset:         120
        .size:           8
        .value_kind:     by_value
      - .offset:         128
        .size:           4
        .value_kind:     by_value
      - .offset:         132
        .size:           4
        .value_kind:     by_value
      - .offset:         136
        .size:           8
        .value_kind:     by_value
      - .offset:         144
        .size:           4
        .value_kind:     hidden_block_count_x
      - .offset:         148
        .size:           4
        .value_kind:     hidden_block_count_y
      - .offset:         152
        .size:           4
        .value_kind:     hidden_block_count_z
      - .offset:         156
        .size:           2
        .value_kind:     hidden_group_size_x
      - .offset:         158
        .size:           2
        .value_kind:     hidden_group_size_y
      - .offset:         160
        .size:           2
        .value_kind:     hidden_group_size_z
      - .offset:         162
        .size:           2
        .value_kind:     hidden_remainder_x
      - .offset:         164
        .size:           2
        .value_kind:     hidden_remainder_y
      - .offset:         166
        .size:           2
        .value_kind:     hidden_remainder_z
      - .offset:         184
        .size:           8
        .value_kind:     hidden_global_offset_x
      - .offset:         192
        .size:           8
        .value_kind:     hidden_global_offset_y
      - .offset:         200
        .size:           8
        .value_kind:     hidden_global_offset_z
      - .offset:         208
        .size:           2
        .value_kind:     hidden_grid_dims
    .group_segment_fixed_size: 0
    .kernarg_segment_align: 8
    .kernarg_segment_size: 400
    .language:       OpenCL C
    .language_version:
      - 2
      - 0
    .max_flat_workgroup_size: 1024
    .name:           _ZN9rocsolver6v33100L11gemm_kernelI19rocblas_complex_numIfEiPKS3_PKPS3_S6_S8_EEvT0_S9_S9_T1_bT2_lS9_S9_lbT3_lS9_S9_lSA_T4_lS9_S9_l
    .private_segment_fixed_size: 0
    .sgpr_count:     36
    .sgpr_spill_count: 0
    .symbol:         _ZN9rocsolver6v33100L11gemm_kernelI19rocblas_complex_numIfEiPKS3_PKPS3_S6_S8_EEvT0_S9_S9_T1_bT2_lS9_S9_lbT3_lS9_S9_lSA_T4_lS9_S9_l.kd
    .uniform_work_group_size: 1
    .uses_dynamic_stack: false
    .vgpr_count:     14
    .vgpr_spill_count: 0
    .wavefront_size: 64
  - .agpr_count:     0
    .args:
      - .offset:         0
        .size:           4
        .value_kind:     by_value
      - .offset:         4
        .size:           4
        .value_kind:     by_value
      - .offset:         8
        .size:           4
        .value_kind:     by_value
      - .offset:         12
        .size:           8
        .value_kind:     by_value
      - .offset:         20
        .size:           1
        .value_kind:     by_value
      - .address_space:  global
        .offset:         24
        .size:           8
        .value_kind:     global_buffer
      - .offset:         32
        .size:           8
        .value_kind:     by_value
      - .offset:         40
        .size:           4
        .value_kind:     by_value
      - .offset:         44
        .size:           4
        .value_kind:     by_value
      - .offset:         48
        .size:           8
        .value_kind:     by_value
      - .offset:         56
        .size:           1
        .value_kind:     by_value
      - .address_space:  global
        .offset:         64
        .size:           8
        .value_kind:     global_buffer
      - .offset:         72
        .size:           8
        .value_kind:     by_value
      - .offset:         80
        .size:           4
        .value_kind:     by_value
      - .offset:         84
        .size:           4
        .value_kind:     by_value
      - .offset:         88
        .size:           8
        .value_kind:     by_value
      - .offset:         96
        .size:           8
        .value_kind:     by_value
      - .address_space:  global
        .offset:         104
        .size:           8
        .value_kind:     global_buffer
      - .offset:         112
        .size:           8
        .value_kind:     by_value
      - .offset:         120
        .size:           4
        .value_kind:     by_value
      - .offset:         124
        .size:           4
        .value_kind:     by_value
      - .offset:         128
        .size:           8
        .value_kind:     by_value
      - .offset:         136
        .size:           4
        .value_kind:     hidden_block_count_x
      - .offset:         140
        .size:           4
        .value_kind:     hidden_block_count_y
      - .offset:         144
        .size:           4
        .value_kind:     hidden_block_count_z
      - .offset:         148
        .size:           2
        .value_kind:     hidden_group_size_x
      - .offset:         150
        .size:           2
        .value_kind:     hidden_group_size_y
      - .offset:         152
        .size:           2
        .value_kind:     hidden_group_size_z
      - .offset:         154
        .size:           2
        .value_kind:     hidden_remainder_x
      - .offset:         156
        .size:           2
        .value_kind:     hidden_remainder_y
      - .offset:         158
        .size:           2
        .value_kind:     hidden_remainder_z
      - .offset:         176
        .size:           8
        .value_kind:     hidden_global_offset_x
      - .offset:         184
        .size:           8
        .value_kind:     hidden_global_offset_y
      - .offset:         192
        .size:           8
        .value_kind:     hidden_global_offset_z
      - .offset:         200
        .size:           2
        .value_kind:     hidden_grid_dims
    .group_segment_fixed_size: 0
    .kernarg_segment_align: 8
    .kernarg_segment_size: 392
    .language:       OpenCL C
    .language_version:
      - 2
      - 0
    .max_flat_workgroup_size: 1024
    .name:           _ZN9rocsolver6v33100L11gemm_kernelI19rocblas_complex_numIfEiS3_PKPS3_S4_S6_EEvT0_S7_S7_T1_bT2_lS7_S7_lbT3_lS7_S7_lS8_T4_lS7_S7_l
    .private_segment_fixed_size: 0
    .sgpr_count:     36
    .sgpr_spill_count: 0
    .symbol:         _ZN9rocsolver6v33100L11gemm_kernelI19rocblas_complex_numIfEiS3_PKPS3_S4_S6_EEvT0_S7_S7_T1_bT2_lS7_S7_lbT3_lS7_S7_lS8_T4_lS7_S7_l.kd
    .uniform_work_group_size: 1
    .uses_dynamic_stack: false
    .vgpr_count:     14
    .vgpr_spill_count: 0
    .wavefront_size: 64
  - .agpr_count:     0
    .args:
      - .offset:         0
        .size:           4
        .value_kind:     by_value
      - .offset:         4
        .size:           4
        .value_kind:     by_value
      - .offset:         8
        .size:           4
        .value_kind:     by_value
      - .offset:         12
        .size:           4
        .value_kind:     by_value
      - .offset:         16
        .size:           4
        .value_kind:     by_value
      - .address_space:  global
        .offset:         24
        .size:           8
        .value_kind:     global_buffer
      - .address_space:  global
        .offset:         32
        .size:           8
        .value_kind:     global_buffer
      - .offset:         40
        .size:           8
        .value_kind:     by_value
      - .offset:         48
        .size:           4
        .value_kind:     by_value
      - .offset:         52
        .size:           4
        .value_kind:     by_value
      - .offset:         56
        .size:           8
        .value_kind:     by_value
      - .address_space:  global
        .offset:         64
        .size:           8
        .value_kind:     global_buffer
      - .offset:         72
        .size:           8
        .value_kind:     by_value
      - .offset:         80
        .size:           4
        .value_kind:     by_value
      - .offset:         84
        .size:           4
        .value_kind:     by_value
      - .offset:         88
        .size:           8
        .value_kind:     by_value
      - .address_space:  global
        .offset:         96
        .size:           8
        .value_kind:     global_buffer
      - .address_space:  global
        .offset:         104
        .size:           8
        .value_kind:     global_buffer
      - .offset:         112
        .size:           8
        .value_kind:     by_value
      - .offset:         120
        .size:           4
        .value_kind:     by_value
      - .offset:         124
        .size:           4
        .value_kind:     by_value
      - .offset:         128
        .size:           8
        .value_kind:     by_value
      - .offset:         136
        .size:           4
        .value_kind:     hidden_block_count_x
      - .offset:         140
        .size:           4
        .value_kind:     hidden_block_count_y
      - .offset:         144
        .size:           4
        .value_kind:     hidden_block_count_z
      - .offset:         148
        .size:           2
        .value_kind:     hidden_group_size_x
      - .offset:         150
        .size:           2
        .value_kind:     hidden_group_size_y
      - .offset:         152
        .size:           2
        .value_kind:     hidden_group_size_z
      - .offset:         154
        .size:           2
        .value_kind:     hidden_remainder_x
      - .offset:         156
        .size:           2
        .value_kind:     hidden_remainder_y
      - .offset:         158
        .size:           2
        .value_kind:     hidden_remainder_z
      - .offset:         176
        .size:           8
        .value_kind:     hidden_global_offset_x
      - .offset:         184
        .size:           8
        .value_kind:     hidden_global_offset_y
      - .offset:         192
        .size:           8
        .value_kind:     hidden_global_offset_z
      - .offset:         200
        .size:           2
        .value_kind:     hidden_grid_dims
    .group_segment_fixed_size: 20480
    .kernarg_segment_align: 8
    .kernarg_segment_size: 392
    .language:       OpenCL C
    .language_version:
      - 2
      - 0
    .max_flat_workgroup_size: 1024
    .name:           _ZN9rocsolver6v33100L16mfma_gemm_kernelI19rocblas_complex_numIfEiPKS3_PKPS3_S8_S6_EEv18rocblas_operation_S9_T0_SA_SA_T1_T2_lSA_SA_lT3_lSA_SA_lSB_T4_lSA_SA_l
    .private_segment_fixed_size: 0
    .sgpr_count:     44
    .sgpr_spill_count: 0
    .symbol:         _ZN9rocsolver6v33100L16mfma_gemm_kernelI19rocblas_complex_numIfEiPKS3_PKPS3_S8_S6_EEv18rocblas_operation_S9_T0_SA_SA_T1_T2_lSA_SA_lT3_lSA_SA_lSB_T4_lSA_SA_l.kd
    .uniform_work_group_size: 1
    .uses_dynamic_stack: false
    .vgpr_count:     50
    .vgpr_spill_count: 0
    .wavefront_size: 64
  - .agpr_count:     0
    .args:
      - .offset:         0
        .size:           4
        .value_kind:     by_value
      - .offset:         4
        .size:           4
        .value_kind:     by_value
      - .offset:         8
        .size:           4
        .value_kind:     by_value
      - .offset:         12
        .size:           4
        .value_kind:     by_value
      - .offset:         16
        .size:           4
        .value_kind:     by_value
      - .offset:         20
        .size:           8
        .value_kind:     by_value
      - .address_space:  global
        .offset:         32
        .size:           8
        .value_kind:     global_buffer
      - .offset:         40
        .size:           8
        .value_kind:     by_value
      - .offset:         48
        .size:           4
        .value_kind:     by_value
      - .offset:         52
        .size:           4
        .value_kind:     by_value
      - .offset:         56
        .size:           8
        .value_kind:     by_value
      - .address_space:  global
        .offset:         64
        .size:           8
        .value_kind:     global_buffer
      - .offset:         72
        .size:           8
        .value_kind:     by_value
      - .offset:         80
        .size:           4
        .value_kind:     by_value
      - .offset:         84
        .size:           4
        .value_kind:     by_value
      - .offset:         88
        .size:           8
        .value_kind:     by_value
      - .offset:         96
        .size:           8
        .value_kind:     by_value
      - .address_space:  global
        .offset:         104
        .size:           8
        .value_kind:     global_buffer
      - .offset:         112
        .size:           8
        .value_kind:     by_value
      - .offset:         120
        .size:           4
        .value_kind:     by_value
      - .offset:         124
        .size:           4
        .value_kind:     by_value
      - .offset:         128
        .size:           8
        .value_kind:     by_value
      - .offset:         136
        .size:           4
        .value_kind:     hidden_block_count_x
      - .offset:         140
        .size:           4
        .value_kind:     hidden_block_count_y
      - .offset:         144
        .size:           4
        .value_kind:     hidden_block_count_z
      - .offset:         148
        .size:           2
        .value_kind:     hidden_group_size_x
      - .offset:         150
        .size:           2
        .value_kind:     hidden_group_size_y
      - .offset:         152
        .size:           2
        .value_kind:     hidden_group_size_z
      - .offset:         154
        .size:           2
        .value_kind:     hidden_remainder_x
      - .offset:         156
        .size:           2
        .value_kind:     hidden_remainder_y
      - .offset:         158
        .size:           2
        .value_kind:     hidden_remainder_z
      - .offset:         176
        .size:           8
        .value_kind:     hidden_global_offset_x
      - .offset:         184
        .size:           8
        .value_kind:     hidden_global_offset_y
      - .offset:         192
        .size:           8
        .value_kind:     hidden_global_offset_z
      - .offset:         200
        .size:           2
        .value_kind:     hidden_grid_dims
    .group_segment_fixed_size: 20480
    .kernarg_segment_align: 8
    .kernarg_segment_size: 392
    .language:       OpenCL C
    .language_version:
      - 2
      - 0
    .max_flat_workgroup_size: 1024
    .name:           _ZN9rocsolver6v33100L16mfma_gemm_kernelI19rocblas_complex_numIfEiS3_PKPS3_S6_S4_EEv18rocblas_operation_S7_T0_S8_S8_T1_T2_lS8_S8_lT3_lS8_S8_lS9_T4_lS8_S8_l
    .private_segment_fixed_size: 0
    .sgpr_count:     42
    .sgpr_spill_count: 0
    .symbol:         _ZN9rocsolver6v33100L16mfma_gemm_kernelI19rocblas_complex_numIfEiS3_PKPS3_S6_S4_EEv18rocblas_operation_S7_T0_S8_S8_T1_T2_lS8_S8_lT3_lS8_S8_lS9_T4_lS8_S8_l.kd
    .uniform_work_group_size: 1
    .uses_dynamic_stack: false
    .vgpr_count:     50
    .vgpr_spill_count: 0
    .wavefront_size: 64
  - .agpr_count:     0
    .args:
      - .offset:         0
        .size:           4
        .value_kind:     by_value
      - .offset:         4
        .size:           4
        .value_kind:     by_value
      - .offset:         8
        .size:           4
        .value_kind:     by_value
      - .address_space:  global
        .offset:         16
        .size:           8
        .value_kind:     global_buffer
      - .offset:         24
        .size:           1
        .value_kind:     by_value
      - .address_space:  global
        .offset:         32
        .size:           8
        .value_kind:     global_buffer
      - .offset:         40
        .size:           8
        .value_kind:     by_value
      - .offset:         48
        .size:           4
        .value_kind:     by_value
      - .offset:         52
        .size:           4
        .value_kind:     by_value
      - .offset:         56
        .size:           8
        .value_kind:     by_value
      - .offset:         64
        .size:           1
        .value_kind:     by_value
      - .address_space:  global
        .offset:         72
        .size:           8
        .value_kind:     global_buffer
      - .offset:         80
        .size:           8
        .value_kind:     by_value
      - .offset:         88
        .size:           4
        .value_kind:     by_value
      - .offset:         92
        .size:           4
        .value_kind:     by_value
      - .offset:         96
        .size:           8
        .value_kind:     by_value
      - .address_space:  global
        .offset:         104
        .size:           8
        .value_kind:     global_buffer
      - .address_space:  global
        .offset:         112
        .size:           8
        .value_kind:     global_buffer
      - .offset:         120
        .size:           8
        .value_kind:     by_value
      - .offset:         128
        .size:           4
        .value_kind:     by_value
      - .offset:         132
        .size:           4
        .value_kind:     by_value
      - .offset:         136
        .size:           8
        .value_kind:     by_value
      - .offset:         144
        .size:           4
        .value_kind:     hidden_block_count_x
      - .offset:         148
        .size:           4
        .value_kind:     hidden_block_count_y
      - .offset:         152
        .size:           4
        .value_kind:     hidden_block_count_z
      - .offset:         156
        .size:           2
        .value_kind:     hidden_group_size_x
      - .offset:         158
        .size:           2
        .value_kind:     hidden_group_size_y
      - .offset:         160
        .size:           2
        .value_kind:     hidden_group_size_z
      - .offset:         162
        .size:           2
        .value_kind:     hidden_remainder_x
      - .offset:         164
        .size:           2
        .value_kind:     hidden_remainder_y
      - .offset:         166
        .size:           2
        .value_kind:     hidden_remainder_z
      - .offset:         184
        .size:           8
        .value_kind:     hidden_global_offset_x
      - .offset:         192
        .size:           8
        .value_kind:     hidden_global_offset_y
      - .offset:         200
        .size:           8
        .value_kind:     hidden_global_offset_z
      - .offset:         208
        .size:           2
        .value_kind:     hidden_grid_dims
    .group_segment_fixed_size: 0
    .kernarg_segment_align: 8
    .kernarg_segment_size: 400
    .language:       OpenCL C
    .language_version:
      - 2
      - 0
    .max_flat_workgroup_size: 1024
    .name:           _ZN9rocsolver6v33100L11gemm_kernelI19rocblas_complex_numIfEiPKS3_PKPS3_S8_S6_EEvT0_S9_S9_T1_bT2_lS9_S9_lbT3_lS9_S9_lSA_T4_lS9_S9_l
    .private_segment_fixed_size: 0
    .sgpr_count:     35
    .sgpr_spill_count: 0
    .symbol:         _ZN9rocsolver6v33100L11gemm_kernelI19rocblas_complex_numIfEiPKS3_PKPS3_S8_S6_EEvT0_S9_S9_T1_bT2_lS9_S9_lbT3_lS9_S9_lSA_T4_lS9_S9_l.kd
    .uniform_work_group_size: 1
    .uses_dynamic_stack: false
    .vgpr_count:     14
    .vgpr_spill_count: 0
    .wavefront_size: 64
  - .agpr_count:     0
    .args:
      - .offset:         0
        .size:           4
        .value_kind:     by_value
      - .offset:         4
        .size:           4
        .value_kind:     by_value
      - .offset:         8
        .size:           4
        .value_kind:     by_value
      - .offset:         12
        .size:           8
        .value_kind:     by_value
      - .offset:         20
        .size:           1
        .value_kind:     by_value
      - .address_space:  global
        .offset:         24
        .size:           8
        .value_kind:     global_buffer
      - .offset:         32
        .size:           8
        .value_kind:     by_value
      - .offset:         40
        .size:           4
        .value_kind:     by_value
      - .offset:         44
        .size:           4
        .value_kind:     by_value
      - .offset:         48
        .size:           8
        .value_kind:     by_value
      - .offset:         56
        .size:           1
        .value_kind:     by_value
      - .address_space:  global
        .offset:         64
        .size:           8
        .value_kind:     global_buffer
      - .offset:         72
        .size:           8
        .value_kind:     by_value
      - .offset:         80
        .size:           4
        .value_kind:     by_value
      - .offset:         84
        .size:           4
        .value_kind:     by_value
      - .offset:         88
        .size:           8
        .value_kind:     by_value
      - .offset:         96
        .size:           8
        .value_kind:     by_value
      - .address_space:  global
        .offset:         104
        .size:           8
        .value_kind:     global_buffer
      - .offset:         112
        .size:           8
        .value_kind:     by_value
      - .offset:         120
        .size:           4
        .value_kind:     by_value
      - .offset:         124
        .size:           4
        .value_kind:     by_value
      - .offset:         128
        .size:           8
        .value_kind:     by_value
      - .offset:         136
        .size:           4
        .value_kind:     hidden_block_count_x
      - .offset:         140
        .size:           4
        .value_kind:     hidden_block_count_y
      - .offset:         144
        .size:           4
        .value_kind:     hidden_block_count_z
      - .offset:         148
        .size:           2
        .value_kind:     hidden_group_size_x
      - .offset:         150
        .size:           2
        .value_kind:     hidden_group_size_y
      - .offset:         152
        .size:           2
        .value_kind:     hidden_group_size_z
      - .offset:         154
        .size:           2
        .value_kind:     hidden_remainder_x
      - .offset:         156
        .size:           2
        .value_kind:     hidden_remainder_y
      - .offset:         158
        .size:           2
        .value_kind:     hidden_remainder_z
      - .offset:         176
        .size:           8
        .value_kind:     hidden_global_offset_x
      - .offset:         184
        .size:           8
        .value_kind:     hidden_global_offset_y
      - .offset:         192
        .size:           8
        .value_kind:     hidden_global_offset_z
      - .offset:         200
        .size:           2
        .value_kind:     hidden_grid_dims
    .group_segment_fixed_size: 0
    .kernarg_segment_align: 8
    .kernarg_segment_size: 392
    .language:       OpenCL C
    .language_version:
      - 2
      - 0
    .max_flat_workgroup_size: 1024
    .name:           _ZN9rocsolver6v33100L11gemm_kernelI19rocblas_complex_numIfEiS3_PKPS3_S6_S4_EEvT0_S7_S7_T1_bT2_lS7_S7_lbT3_lS7_S7_lS8_T4_lS7_S7_l
    .private_segment_fixed_size: 0
    .sgpr_count:     31
    .sgpr_spill_count: 0
    .symbol:         _ZN9rocsolver6v33100L11gemm_kernelI19rocblas_complex_numIfEiS3_PKPS3_S6_S4_EEvT0_S7_S7_T1_bT2_lS7_S7_lbT3_lS7_S7_lS8_T4_lS7_S7_l.kd
    .uniform_work_group_size: 1
    .uses_dynamic_stack: false
    .vgpr_count:     14
    .vgpr_spill_count: 0
    .wavefront_size: 64
  - .agpr_count:     0
    .args:
      - .offset:         0
        .size:           4
        .value_kind:     by_value
      - .offset:         4
        .size:           4
        .value_kind:     by_value
      - .offset:         8
        .size:           4
        .value_kind:     by_value
      - .offset:         12
        .size:           4
        .value_kind:     by_value
      - .offset:         16
        .size:           4
        .value_kind:     by_value
      - .address_space:  global
        .offset:         24
        .size:           8
        .value_kind:     global_buffer
      - .address_space:  global
        .offset:         32
        .size:           8
        .value_kind:     global_buffer
      - .offset:         40
        .size:           8
        .value_kind:     by_value
      - .offset:         48
        .size:           4
        .value_kind:     by_value
      - .offset:         52
        .size:           4
        .value_kind:     by_value
      - .offset:         56
        .size:           8
        .value_kind:     by_value
      - .address_space:  global
        .offset:         64
        .size:           8
        .value_kind:     global_buffer
      - .offset:         72
        .size:           8
        .value_kind:     by_value
      - .offset:         80
        .size:           4
        .value_kind:     by_value
      - .offset:         84
        .size:           4
        .value_kind:     by_value
      - .offset:         88
        .size:           8
        .value_kind:     by_value
      - .address_space:  global
        .offset:         96
        .size:           8
        .value_kind:     global_buffer
      - .address_space:  global
        .offset:         104
        .size:           8
        .value_kind:     global_buffer
      - .offset:         112
        .size:           8
        .value_kind:     by_value
      - .offset:         120
        .size:           4
        .value_kind:     by_value
      - .offset:         124
        .size:           4
        .value_kind:     by_value
      - .offset:         128
        .size:           8
        .value_kind:     by_value
      - .offset:         136
        .size:           4
        .value_kind:     hidden_block_count_x
      - .offset:         140
        .size:           4
        .value_kind:     hidden_block_count_y
      - .offset:         144
        .size:           4
        .value_kind:     hidden_block_count_z
      - .offset:         148
        .size:           2
        .value_kind:     hidden_group_size_x
      - .offset:         150
        .size:           2
        .value_kind:     hidden_group_size_y
      - .offset:         152
        .size:           2
        .value_kind:     hidden_group_size_z
      - .offset:         154
        .size:           2
        .value_kind:     hidden_remainder_x
      - .offset:         156
        .size:           2
        .value_kind:     hidden_remainder_y
      - .offset:         158
        .size:           2
        .value_kind:     hidden_remainder_z
      - .offset:         176
        .size:           8
        .value_kind:     hidden_global_offset_x
      - .offset:         184
        .size:           8
        .value_kind:     hidden_global_offset_y
      - .offset:         192
        .size:           8
        .value_kind:     hidden_global_offset_z
      - .offset:         200
        .size:           2
        .value_kind:     hidden_grid_dims
    .group_segment_fixed_size: 20480
    .kernarg_segment_align: 8
    .kernarg_segment_size: 392
    .language:       OpenCL C
    .language_version:
      - 2
      - 0
    .max_flat_workgroup_size: 1024
    .name:           _ZN9rocsolver6v33100L16mfma_gemm_kernelI19rocblas_complex_numIfEiPKS3_PKPS3_S6_S6_EEv18rocblas_operation_S9_T0_SA_SA_T1_T2_lSA_SA_lT3_lSA_SA_lSB_T4_lSA_SA_l
    .private_segment_fixed_size: 0
    .sgpr_count:     44
    .sgpr_spill_count: 0
    .symbol:         _ZN9rocsolver6v33100L16mfma_gemm_kernelI19rocblas_complex_numIfEiPKS3_PKPS3_S6_S6_EEv18rocblas_operation_S9_T0_SA_SA_T1_T2_lSA_SA_lT3_lSA_SA_lSB_T4_lSA_SA_l.kd
    .uniform_work_group_size: 1
    .uses_dynamic_stack: false
    .vgpr_count:     50
    .vgpr_spill_count: 0
    .wavefront_size: 64
  - .agpr_count:     0
    .args:
      - .offset:         0
        .size:           4
        .value_kind:     by_value
      - .offset:         4
        .size:           4
        .value_kind:     by_value
      - .offset:         8
        .size:           4
        .value_kind:     by_value
      - .offset:         12
        .size:           4
        .value_kind:     by_value
      - .offset:         16
        .size:           4
        .value_kind:     by_value
      - .offset:         20
        .size:           8
        .value_kind:     by_value
      - .address_space:  global
        .offset:         32
        .size:           8
        .value_kind:     global_buffer
      - .offset:         40
        .size:           8
        .value_kind:     by_value
      - .offset:         48
        .size:           4
        .value_kind:     by_value
      - .offset:         52
        .size:           4
        .value_kind:     by_value
      - .offset:         56
        .size:           8
        .value_kind:     by_value
      - .address_space:  global
        .offset:         64
        .size:           8
        .value_kind:     global_buffer
      - .offset:         72
        .size:           8
        .value_kind:     by_value
      - .offset:         80
        .size:           4
        .value_kind:     by_value
      - .offset:         84
        .size:           4
        .value_kind:     by_value
      - .offset:         88
        .size:           8
        .value_kind:     by_value
      - .offset:         96
        .size:           8
        .value_kind:     by_value
      - .address_space:  global
        .offset:         104
        .size:           8
        .value_kind:     global_buffer
      - .offset:         112
        .size:           8
        .value_kind:     by_value
      - .offset:         120
        .size:           4
        .value_kind:     by_value
      - .offset:         124
        .size:           4
        .value_kind:     by_value
      - .offset:         128
        .size:           8
        .value_kind:     by_value
      - .offset:         136
        .size:           4
        .value_kind:     hidden_block_count_x
      - .offset:         140
        .size:           4
        .value_kind:     hidden_block_count_y
      - .offset:         144
        .size:           4
        .value_kind:     hidden_block_count_z
      - .offset:         148
        .size:           2
        .value_kind:     hidden_group_size_x
      - .offset:         150
        .size:           2
        .value_kind:     hidden_group_size_y
      - .offset:         152
        .size:           2
        .value_kind:     hidden_group_size_z
      - .offset:         154
        .size:           2
        .value_kind:     hidden_remainder_x
      - .offset:         156
        .size:           2
        .value_kind:     hidden_remainder_y
      - .offset:         158
        .size:           2
        .value_kind:     hidden_remainder_z
      - .offset:         176
        .size:           8
        .value_kind:     hidden_global_offset_x
      - .offset:         184
        .size:           8
        .value_kind:     hidden_global_offset_y
      - .offset:         192
        .size:           8
        .value_kind:     hidden_global_offset_z
      - .offset:         200
        .size:           2
        .value_kind:     hidden_grid_dims
    .group_segment_fixed_size: 20480
    .kernarg_segment_align: 8
    .kernarg_segment_size: 392
    .language:       OpenCL C
    .language_version:
      - 2
      - 0
    .max_flat_workgroup_size: 1024
    .name:           _ZN9rocsolver6v33100L16mfma_gemm_kernelI19rocblas_complex_numIfEiS3_PKPS3_S4_S4_EEv18rocblas_operation_S7_T0_S8_S8_T1_T2_lS8_S8_lT3_lS8_S8_lS9_T4_lS8_S8_l
    .private_segment_fixed_size: 0
    .sgpr_count:     44
    .sgpr_spill_count: 0
    .symbol:         _ZN9rocsolver6v33100L16mfma_gemm_kernelI19rocblas_complex_numIfEiS3_PKPS3_S4_S4_EEv18rocblas_operation_S7_T0_S8_S8_T1_T2_lS8_S8_lT3_lS8_S8_lS9_T4_lS8_S8_l.kd
    .uniform_work_group_size: 1
    .uses_dynamic_stack: false
    .vgpr_count:     50
    .vgpr_spill_count: 0
    .wavefront_size: 64
  - .agpr_count:     0
    .args:
      - .offset:         0
        .size:           4
        .value_kind:     by_value
      - .offset:         4
        .size:           4
        .value_kind:     by_value
      - .offset:         8
        .size:           4
        .value_kind:     by_value
      - .address_space:  global
        .offset:         16
        .size:           8
        .value_kind:     global_buffer
      - .offset:         24
        .size:           1
        .value_kind:     by_value
      - .address_space:  global
        .offset:         32
        .size:           8
        .value_kind:     global_buffer
      - .offset:         40
        .size:           8
        .value_kind:     by_value
      - .offset:         48
        .size:           4
        .value_kind:     by_value
      - .offset:         52
        .size:           4
        .value_kind:     by_value
      - .offset:         56
        .size:           8
        .value_kind:     by_value
      - .offset:         64
        .size:           1
        .value_kind:     by_value
      - .address_space:  global
        .offset:         72
        .size:           8
        .value_kind:     global_buffer
      - .offset:         80
        .size:           8
        .value_kind:     by_value
      - .offset:         88
        .size:           4
        .value_kind:     by_value
      - .offset:         92
        .size:           4
        .value_kind:     by_value
      - .offset:         96
        .size:           8
        .value_kind:     by_value
      - .address_space:  global
        .offset:         104
        .size:           8
        .value_kind:     global_buffer
      - .address_space:  global
        .offset:         112
        .size:           8
        .value_kind:     global_buffer
      - .offset:         120
        .size:           8
        .value_kind:     by_value
      - .offset:         128
        .size:           4
        .value_kind:     by_value
      - .offset:         132
        .size:           4
        .value_kind:     by_value
      - .offset:         136
        .size:           8
        .value_kind:     by_value
      - .offset:         144
        .size:           4
        .value_kind:     hidden_block_count_x
      - .offset:         148
        .size:           4
        .value_kind:     hidden_block_count_y
      - .offset:         152
        .size:           4
        .value_kind:     hidden_block_count_z
      - .offset:         156
        .size:           2
        .value_kind:     hidden_group_size_x
      - .offset:         158
        .size:           2
        .value_kind:     hidden_group_size_y
      - .offset:         160
        .size:           2
        .value_kind:     hidden_group_size_z
      - .offset:         162
        .size:           2
        .value_kind:     hidden_remainder_x
      - .offset:         164
        .size:           2
        .value_kind:     hidden_remainder_y
      - .offset:         166
        .size:           2
        .value_kind:     hidden_remainder_z
      - .offset:         184
        .size:           8
        .value_kind:     hidden_global_offset_x
      - .offset:         192
        .size:           8
        .value_kind:     hidden_global_offset_y
      - .offset:         200
        .size:           8
        .value_kind:     hidden_global_offset_z
      - .offset:         208
        .size:           2
        .value_kind:     hidden_grid_dims
    .group_segment_fixed_size: 0
    .kernarg_segment_align: 8
    .kernarg_segment_size: 400
    .language:       OpenCL C
    .language_version:
      - 2
      - 0
    .max_flat_workgroup_size: 1024
    .name:           _ZN9rocsolver6v33100L11gemm_kernelI19rocblas_complex_numIfEiPKS3_PKPS3_S6_S6_EEvT0_S9_S9_T1_bT2_lS9_S9_lbT3_lS9_S9_lSA_T4_lS9_S9_l
    .private_segment_fixed_size: 0
    .sgpr_count:     36
    .sgpr_spill_count: 0
    .symbol:         _ZN9rocsolver6v33100L11gemm_kernelI19rocblas_complex_numIfEiPKS3_PKPS3_S6_S6_EEvT0_S9_S9_T1_bT2_lS9_S9_lbT3_lS9_S9_lSA_T4_lS9_S9_l.kd
    .uniform_work_group_size: 1
    .uses_dynamic_stack: false
    .vgpr_count:     14
    .vgpr_spill_count: 0
    .wavefront_size: 64
  - .agpr_count:     0
    .args:
      - .offset:         0
        .size:           4
        .value_kind:     by_value
      - .offset:         4
        .size:           4
        .value_kind:     by_value
      - .offset:         8
        .size:           4
        .value_kind:     by_value
      - .offset:         12
        .size:           8
        .value_kind:     by_value
      - .offset:         20
        .size:           1
        .value_kind:     by_value
      - .address_space:  global
        .offset:         24
        .size:           8
        .value_kind:     global_buffer
      - .offset:         32
        .size:           8
        .value_kind:     by_value
      - .offset:         40
        .size:           4
        .value_kind:     by_value
      - .offset:         44
        .size:           4
        .value_kind:     by_value
      - .offset:         48
        .size:           8
        .value_kind:     by_value
      - .offset:         56
        .size:           1
        .value_kind:     by_value
      - .address_space:  global
        .offset:         64
        .size:           8
        .value_kind:     global_buffer
      - .offset:         72
        .size:           8
        .value_kind:     by_value
      - .offset:         80
        .size:           4
        .value_kind:     by_value
      - .offset:         84
        .size:           4
        .value_kind:     by_value
      - .offset:         88
        .size:           8
        .value_kind:     by_value
      - .offset:         96
        .size:           8
        .value_kind:     by_value
      - .address_space:  global
        .offset:         104
        .size:           8
        .value_kind:     global_buffer
      - .offset:         112
        .size:           8
        .value_kind:     by_value
      - .offset:         120
        .size:           4
        .value_kind:     by_value
      - .offset:         124
        .size:           4
        .value_kind:     by_value
      - .offset:         128
        .size:           8
        .value_kind:     by_value
      - .offset:         136
        .size:           4
        .value_kind:     hidden_block_count_x
      - .offset:         140
        .size:           4
        .value_kind:     hidden_block_count_y
      - .offset:         144
        .size:           4
        .value_kind:     hidden_block_count_z
      - .offset:         148
        .size:           2
        .value_kind:     hidden_group_size_x
      - .offset:         150
        .size:           2
        .value_kind:     hidden_group_size_y
      - .offset:         152
        .size:           2
        .value_kind:     hidden_group_size_z
      - .offset:         154
        .size:           2
        .value_kind:     hidden_remainder_x
      - .offset:         156
        .size:           2
        .value_kind:     hidden_remainder_y
      - .offset:         158
        .size:           2
        .value_kind:     hidden_remainder_z
      - .offset:         176
        .size:           8
        .value_kind:     hidden_global_offset_x
      - .offset:         184
        .size:           8
        .value_kind:     hidden_global_offset_y
      - .offset:         192
        .size:           8
        .value_kind:     hidden_global_offset_z
      - .offset:         200
        .size:           2
        .value_kind:     hidden_grid_dims
    .group_segment_fixed_size: 0
    .kernarg_segment_align: 8
    .kernarg_segment_size: 392
    .language:       OpenCL C
    .language_version:
      - 2
      - 0
    .max_flat_workgroup_size: 1024
    .name:           _ZN9rocsolver6v33100L11gemm_kernelI19rocblas_complex_numIfEiS3_PKPS3_S4_S4_EEvT0_S7_S7_T1_bT2_lS7_S7_lbT3_lS7_S7_lS8_T4_lS7_S7_l
    .private_segment_fixed_size: 0
    .sgpr_count:     32
    .sgpr_spill_count: 0
    .symbol:         _ZN9rocsolver6v33100L11gemm_kernelI19rocblas_complex_numIfEiS3_PKPS3_S4_S4_EEvT0_S7_S7_T1_bT2_lS7_S7_lbT3_lS7_S7_lS8_T4_lS7_S7_l.kd
    .uniform_work_group_size: 1
    .uses_dynamic_stack: false
    .vgpr_count:     14
    .vgpr_spill_count: 0
    .wavefront_size: 64
  - .agpr_count:     0
    .args:
      - .offset:         0
        .size:           4
        .value_kind:     by_value
      - .offset:         4
        .size:           4
        .value_kind:     by_value
      - .offset:         8
        .size:           4
        .value_kind:     by_value
      - .offset:         12
        .size:           4
        .value_kind:     by_value
      - .offset:         16
        .size:           4
        .value_kind:     by_value
      - .address_space:  global
        .offset:         24
        .size:           8
        .value_kind:     global_buffer
      - .address_space:  global
        .offset:         32
        .size:           8
        .value_kind:     global_buffer
      - .offset:         40
        .size:           8
        .value_kind:     by_value
      - .offset:         48
        .size:           4
        .value_kind:     by_value
      - .offset:         52
        .size:           4
        .value_kind:     by_value
      - .offset:         56
        .size:           8
        .value_kind:     by_value
      - .address_space:  global
        .offset:         64
        .size:           8
        .value_kind:     global_buffer
      - .offset:         72
        .size:           8
        .value_kind:     by_value
      - .offset:         80
        .size:           4
        .value_kind:     by_value
      - .offset:         84
        .size:           4
        .value_kind:     by_value
      - .offset:         88
        .size:           8
        .value_kind:     by_value
      - .address_space:  global
        .offset:         96
        .size:           8
        .value_kind:     global_buffer
      - .address_space:  global
        .offset:         104
        .size:           8
        .value_kind:     global_buffer
      - .offset:         112
        .size:           8
        .value_kind:     by_value
      - .offset:         120
        .size:           4
        .value_kind:     by_value
      - .offset:         124
        .size:           4
        .value_kind:     by_value
      - .offset:         128
        .size:           8
        .value_kind:     by_value
      - .offset:         136
        .size:           4
        .value_kind:     hidden_block_count_x
      - .offset:         140
        .size:           4
        .value_kind:     hidden_block_count_y
      - .offset:         144
        .size:           4
        .value_kind:     hidden_block_count_z
      - .offset:         148
        .size:           2
        .value_kind:     hidden_group_size_x
      - .offset:         150
        .size:           2
        .value_kind:     hidden_group_size_y
      - .offset:         152
        .size:           2
        .value_kind:     hidden_group_size_z
      - .offset:         154
        .size:           2
        .value_kind:     hidden_remainder_x
      - .offset:         156
        .size:           2
        .value_kind:     hidden_remainder_y
      - .offset:         158
        .size:           2
        .value_kind:     hidden_remainder_z
      - .offset:         176
        .size:           8
        .value_kind:     hidden_global_offset_x
      - .offset:         184
        .size:           8
        .value_kind:     hidden_global_offset_y
      - .offset:         192
        .size:           8
        .value_kind:     hidden_global_offset_z
      - .offset:         200
        .size:           2
        .value_kind:     hidden_grid_dims
    .group_segment_fixed_size: 20480
    .kernarg_segment_align: 8
    .kernarg_segment_size: 392
    .language:       OpenCL C
    .language_version:
      - 2
      - 0
    .max_flat_workgroup_size: 1024
    .name:           _ZN9rocsolver6v33100L16mfma_gemm_kernelI19rocblas_complex_numIfEiPKS3_PS3_PKS6_S6_EEv18rocblas_operation_S9_T0_SA_SA_T1_T2_lSA_SA_lT3_lSA_SA_lSB_T4_lSA_SA_l
    .private_segment_fixed_size: 0
    .sgpr_count:     43
    .sgpr_spill_count: 0
    .symbol:         _ZN9rocsolver6v33100L16mfma_gemm_kernelI19rocblas_complex_numIfEiPKS3_PS3_PKS6_S6_EEv18rocblas_operation_S9_T0_SA_SA_T1_T2_lSA_SA_lT3_lSA_SA_lSB_T4_lSA_SA_l.kd
    .uniform_work_group_size: 1
    .uses_dynamic_stack: false
    .vgpr_count:     50
    .vgpr_spill_count: 0
    .wavefront_size: 64
  - .agpr_count:     0
    .args:
      - .offset:         0
        .size:           4
        .value_kind:     by_value
      - .offset:         4
        .size:           4
        .value_kind:     by_value
      - .offset:         8
        .size:           4
        .value_kind:     by_value
      - .offset:         12
        .size:           4
        .value_kind:     by_value
      - .offset:         16
        .size:           4
        .value_kind:     by_value
      - .offset:         20
        .size:           8
        .value_kind:     by_value
      - .address_space:  global
        .offset:         32
        .size:           8
        .value_kind:     global_buffer
      - .offset:         40
        .size:           8
        .value_kind:     by_value
      - .offset:         48
        .size:           4
        .value_kind:     by_value
      - .offset:         52
        .size:           4
        .value_kind:     by_value
      - .offset:         56
        .size:           8
        .value_kind:     by_value
      - .address_space:  global
        .offset:         64
        .size:           8
        .value_kind:     global_buffer
      - .offset:         72
        .size:           8
        .value_kind:     by_value
      - .offset:         80
        .size:           4
        .value_kind:     by_value
      - .offset:         84
        .size:           4
        .value_kind:     by_value
      - .offset:         88
        .size:           8
        .value_kind:     by_value
      - .offset:         96
        .size:           8
        .value_kind:     by_value
      - .address_space:  global
        .offset:         104
        .size:           8
        .value_kind:     global_buffer
      - .offset:         112
        .size:           8
        .value_kind:     by_value
      - .offset:         120
        .size:           4
        .value_kind:     by_value
      - .offset:         124
        .size:           4
        .value_kind:     by_value
      - .offset:         128
        .size:           8
        .value_kind:     by_value
      - .offset:         136
        .size:           4
        .value_kind:     hidden_block_count_x
      - .offset:         140
        .size:           4
        .value_kind:     hidden_block_count_y
      - .offset:         144
        .size:           4
        .value_kind:     hidden_block_count_z
      - .offset:         148
        .size:           2
        .value_kind:     hidden_group_size_x
      - .offset:         150
        .size:           2
        .value_kind:     hidden_group_size_y
      - .offset:         152
        .size:           2
        .value_kind:     hidden_group_size_z
      - .offset:         154
        .size:           2
        .value_kind:     hidden_remainder_x
      - .offset:         156
        .size:           2
        .value_kind:     hidden_remainder_y
      - .offset:         158
        .size:           2
        .value_kind:     hidden_remainder_z
      - .offset:         176
        .size:           8
        .value_kind:     hidden_global_offset_x
      - .offset:         184
        .size:           8
        .value_kind:     hidden_global_offset_y
      - .offset:         192
        .size:           8
        .value_kind:     hidden_global_offset_z
      - .offset:         200
        .size:           2
        .value_kind:     hidden_grid_dims
    .group_segment_fixed_size: 20480
    .kernarg_segment_align: 8
    .kernarg_segment_size: 392
    .language:       OpenCL C
    .language_version:
      - 2
      - 0
    .max_flat_workgroup_size: 1024
    .name:           _ZN9rocsolver6v33100L16mfma_gemm_kernelI19rocblas_complex_numIfEiS3_PS3_PKS4_S4_EEv18rocblas_operation_S7_T0_S8_S8_T1_T2_lS8_S8_lT3_lS8_S8_lS9_T4_lS8_S8_l
    .private_segment_fixed_size: 0
    .sgpr_count:     44
    .sgpr_spill_count: 0
    .symbol:         _ZN9rocsolver6v33100L16mfma_gemm_kernelI19rocblas_complex_numIfEiS3_PS3_PKS4_S4_EEv18rocblas_operation_S7_T0_S8_S8_T1_T2_lS8_S8_lT3_lS8_S8_lS9_T4_lS8_S8_l.kd
    .uniform_work_group_size: 1
    .uses_dynamic_stack: false
    .vgpr_count:     50
    .vgpr_spill_count: 0
    .wavefront_size: 64
  - .agpr_count:     0
    .args:
      - .offset:         0
        .size:           4
        .value_kind:     by_value
      - .offset:         4
        .size:           4
        .value_kind:     by_value
      - .offset:         8
        .size:           4
        .value_kind:     by_value
      - .address_space:  global
        .offset:         16
        .size:           8
        .value_kind:     global_buffer
      - .offset:         24
        .size:           1
        .value_kind:     by_value
      - .address_space:  global
        .offset:         32
        .size:           8
        .value_kind:     global_buffer
      - .offset:         40
        .size:           8
        .value_kind:     by_value
      - .offset:         48
        .size:           4
        .value_kind:     by_value
      - .offset:         52
        .size:           4
        .value_kind:     by_value
      - .offset:         56
        .size:           8
        .value_kind:     by_value
      - .offset:         64
        .size:           1
        .value_kind:     by_value
      - .address_space:  global
        .offset:         72
        .size:           8
        .value_kind:     global_buffer
      - .offset:         80
        .size:           8
        .value_kind:     by_value
      - .offset:         88
        .size:           4
        .value_kind:     by_value
      - .offset:         92
        .size:           4
        .value_kind:     by_value
      - .offset:         96
        .size:           8
        .value_kind:     by_value
      - .address_space:  global
        .offset:         104
        .size:           8
        .value_kind:     global_buffer
      - .address_space:  global
        .offset:         112
        .size:           8
        .value_kind:     global_buffer
      - .offset:         120
        .size:           8
        .value_kind:     by_value
      - .offset:         128
        .size:           4
        .value_kind:     by_value
      - .offset:         132
        .size:           4
        .value_kind:     by_value
      - .offset:         136
        .size:           8
        .value_kind:     by_value
      - .offset:         144
        .size:           4
        .value_kind:     hidden_block_count_x
      - .offset:         148
        .size:           4
        .value_kind:     hidden_block_count_y
      - .offset:         152
        .size:           4
        .value_kind:     hidden_block_count_z
      - .offset:         156
        .size:           2
        .value_kind:     hidden_group_size_x
      - .offset:         158
        .size:           2
        .value_kind:     hidden_group_size_y
      - .offset:         160
        .size:           2
        .value_kind:     hidden_group_size_z
      - .offset:         162
        .size:           2
        .value_kind:     hidden_remainder_x
      - .offset:         164
        .size:           2
        .value_kind:     hidden_remainder_y
      - .offset:         166
        .size:           2
        .value_kind:     hidden_remainder_z
      - .offset:         184
        .size:           8
        .value_kind:     hidden_global_offset_x
      - .offset:         192
        .size:           8
        .value_kind:     hidden_global_offset_y
      - .offset:         200
        .size:           8
        .value_kind:     hidden_global_offset_z
      - .offset:         208
        .size:           2
        .value_kind:     hidden_grid_dims
    .group_segment_fixed_size: 0
    .kernarg_segment_align: 8
    .kernarg_segment_size: 400
    .language:       OpenCL C
    .language_version:
      - 2
      - 0
    .max_flat_workgroup_size: 1024
    .name:           _ZN9rocsolver6v33100L11gemm_kernelI19rocblas_complex_numIfEiPKS3_PS3_PKS6_S6_EEvT0_S9_S9_T1_bT2_lS9_S9_lbT3_lS9_S9_lSA_T4_lS9_S9_l
    .private_segment_fixed_size: 0
    .sgpr_count:     36
    .sgpr_spill_count: 0
    .symbol:         _ZN9rocsolver6v33100L11gemm_kernelI19rocblas_complex_numIfEiPKS3_PS3_PKS6_S6_EEvT0_S9_S9_T1_bT2_lS9_S9_lbT3_lS9_S9_lSA_T4_lS9_S9_l.kd
    .uniform_work_group_size: 1
    .uses_dynamic_stack: false
    .vgpr_count:     14
    .vgpr_spill_count: 0
    .wavefront_size: 64
  - .agpr_count:     0
    .args:
      - .offset:         0
        .size:           4
        .value_kind:     by_value
      - .offset:         4
        .size:           4
        .value_kind:     by_value
      - .offset:         8
        .size:           4
        .value_kind:     by_value
      - .offset:         12
        .size:           8
        .value_kind:     by_value
      - .offset:         20
        .size:           1
        .value_kind:     by_value
      - .address_space:  global
        .offset:         24
        .size:           8
        .value_kind:     global_buffer
      - .offset:         32
        .size:           8
        .value_kind:     by_value
      - .offset:         40
        .size:           4
        .value_kind:     by_value
      - .offset:         44
        .size:           4
        .value_kind:     by_value
      - .offset:         48
        .size:           8
        .value_kind:     by_value
      - .offset:         56
        .size:           1
        .value_kind:     by_value
      - .address_space:  global
        .offset:         64
        .size:           8
        .value_kind:     global_buffer
      - .offset:         72
        .size:           8
        .value_kind:     by_value
      - .offset:         80
        .size:           4
        .value_kind:     by_value
      - .offset:         84
        .size:           4
        .value_kind:     by_value
      - .offset:         88
        .size:           8
        .value_kind:     by_value
      - .offset:         96
        .size:           8
        .value_kind:     by_value
      - .address_space:  global
        .offset:         104
        .size:           8
        .value_kind:     global_buffer
      - .offset:         112
        .size:           8
        .value_kind:     by_value
      - .offset:         120
        .size:           4
        .value_kind:     by_value
      - .offset:         124
        .size:           4
        .value_kind:     by_value
      - .offset:         128
        .size:           8
        .value_kind:     by_value
      - .offset:         136
        .size:           4
        .value_kind:     hidden_block_count_x
      - .offset:         140
        .size:           4
        .value_kind:     hidden_block_count_y
      - .offset:         144
        .size:           4
        .value_kind:     hidden_block_count_z
      - .offset:         148
        .size:           2
        .value_kind:     hidden_group_size_x
      - .offset:         150
        .size:           2
        .value_kind:     hidden_group_size_y
      - .offset:         152
        .size:           2
        .value_kind:     hidden_group_size_z
      - .offset:         154
        .size:           2
        .value_kind:     hidden_remainder_x
      - .offset:         156
        .size:           2
        .value_kind:     hidden_remainder_y
      - .offset:         158
        .size:           2
        .value_kind:     hidden_remainder_z
      - .offset:         176
        .size:           8
        .value_kind:     hidden_global_offset_x
      - .offset:         184
        .size:           8
        .value_kind:     hidden_global_offset_y
      - .offset:         192
        .size:           8
        .value_kind:     hidden_global_offset_z
      - .offset:         200
        .size:           2
        .value_kind:     hidden_grid_dims
    .group_segment_fixed_size: 0
    .kernarg_segment_align: 8
    .kernarg_segment_size: 392
    .language:       OpenCL C
    .language_version:
      - 2
      - 0
    .max_flat_workgroup_size: 1024
    .name:           _ZN9rocsolver6v33100L11gemm_kernelI19rocblas_complex_numIfEiS3_PS3_PKS4_S4_EEvT0_S7_S7_T1_bT2_lS7_S7_lbT3_lS7_S7_lS8_T4_lS7_S7_l
    .private_segment_fixed_size: 0
    .sgpr_count:     32
    .sgpr_spill_count: 0
    .symbol:         _ZN9rocsolver6v33100L11gemm_kernelI19rocblas_complex_numIfEiS3_PS3_PKS4_S4_EEvT0_S7_S7_T1_bT2_lS7_S7_lbT3_lS7_S7_lS8_T4_lS7_S7_l.kd
    .uniform_work_group_size: 1
    .uses_dynamic_stack: false
    .vgpr_count:     14
    .vgpr_spill_count: 0
    .wavefront_size: 64
  - .agpr_count:     0
    .args:
      - .offset:         0
        .size:           4
        .value_kind:     by_value
      - .offset:         4
        .size:           4
        .value_kind:     by_value
      - .offset:         8
        .size:           4
        .value_kind:     by_value
      - .offset:         12
        .size:           4
        .value_kind:     by_value
      - .offset:         16
        .size:           4
        .value_kind:     by_value
      - .address_space:  global
        .offset:         24
        .size:           8
        .value_kind:     global_buffer
      - .address_space:  global
        .offset:         32
        .size:           8
        .value_kind:     global_buffer
      - .offset:         40
        .size:           8
        .value_kind:     by_value
      - .offset:         48
        .size:           4
        .value_kind:     by_value
      - .offset:         52
        .size:           4
        .value_kind:     by_value
      - .offset:         56
        .size:           8
        .value_kind:     by_value
      - .address_space:  global
        .offset:         64
        .size:           8
        .value_kind:     global_buffer
      - .offset:         72
        .size:           8
        .value_kind:     by_value
      - .offset:         80
        .size:           4
        .value_kind:     by_value
      - .offset:         84
        .size:           4
        .value_kind:     by_value
      - .offset:         88
        .size:           8
        .value_kind:     by_value
      - .address_space:  global
        .offset:         96
        .size:           8
        .value_kind:     global_buffer
      - .address_space:  global
        .offset:         104
        .size:           8
        .value_kind:     global_buffer
      - .offset:         112
        .size:           8
        .value_kind:     by_value
      - .offset:         120
        .size:           4
        .value_kind:     by_value
      - .offset:         124
        .size:           4
        .value_kind:     by_value
      - .offset:         128
        .size:           8
        .value_kind:     by_value
      - .offset:         136
        .size:           4
        .value_kind:     hidden_block_count_x
      - .offset:         140
        .size:           4
        .value_kind:     hidden_block_count_y
      - .offset:         144
        .size:           4
        .value_kind:     hidden_block_count_z
      - .offset:         148
        .size:           2
        .value_kind:     hidden_group_size_x
      - .offset:         150
        .size:           2
        .value_kind:     hidden_group_size_y
      - .offset:         152
        .size:           2
        .value_kind:     hidden_group_size_z
      - .offset:         154
        .size:           2
        .value_kind:     hidden_remainder_x
      - .offset:         156
        .size:           2
        .value_kind:     hidden_remainder_y
      - .offset:         158
        .size:           2
        .value_kind:     hidden_remainder_z
      - .offset:         176
        .size:           8
        .value_kind:     hidden_global_offset_x
      - .offset:         184
        .size:           8
        .value_kind:     hidden_global_offset_y
      - .offset:         192
        .size:           8
        .value_kind:     hidden_global_offset_z
      - .offset:         200
        .size:           2
        .value_kind:     hidden_grid_dims
    .group_segment_fixed_size: 20480
    .kernarg_segment_align: 8
    .kernarg_segment_size: 392
    .language:       OpenCL C
    .language_version:
      - 2
      - 0
    .max_flat_workgroup_size: 1024
    .name:           _ZN9rocsolver6v33100L16mfma_gemm_kernelI19rocblas_complex_numIfEiPKS3_PS3_S6_PKS6_EEv18rocblas_operation_S9_T0_SA_SA_T1_T2_lSA_SA_lT3_lSA_SA_lSB_T4_lSA_SA_l
    .private_segment_fixed_size: 0
    .sgpr_count:     45
    .sgpr_spill_count: 0
    .symbol:         _ZN9rocsolver6v33100L16mfma_gemm_kernelI19rocblas_complex_numIfEiPKS3_PS3_S6_PKS6_EEv18rocblas_operation_S9_T0_SA_SA_T1_T2_lSA_SA_lT3_lSA_SA_lSB_T4_lSA_SA_l.kd
    .uniform_work_group_size: 1
    .uses_dynamic_stack: false
    .vgpr_count:     50
    .vgpr_spill_count: 0
    .wavefront_size: 64
  - .agpr_count:     0
    .args:
      - .offset:         0
        .size:           4
        .value_kind:     by_value
      - .offset:         4
        .size:           4
        .value_kind:     by_value
      - .offset:         8
        .size:           4
        .value_kind:     by_value
      - .offset:         12
        .size:           4
        .value_kind:     by_value
      - .offset:         16
        .size:           4
        .value_kind:     by_value
      - .offset:         20
        .size:           8
        .value_kind:     by_value
      - .address_space:  global
        .offset:         32
        .size:           8
        .value_kind:     global_buffer
      - .offset:         40
        .size:           8
        .value_kind:     by_value
      - .offset:         48
        .size:           4
        .value_kind:     by_value
      - .offset:         52
        .size:           4
        .value_kind:     by_value
      - .offset:         56
        .size:           8
        .value_kind:     by_value
      - .address_space:  global
        .offset:         64
        .size:           8
        .value_kind:     global_buffer
      - .offset:         72
        .size:           8
        .value_kind:     by_value
      - .offset:         80
        .size:           4
        .value_kind:     by_value
      - .offset:         84
        .size:           4
        .value_kind:     by_value
      - .offset:         88
        .size:           8
        .value_kind:     by_value
      - .offset:         96
        .size:           8
        .value_kind:     by_value
      - .address_space:  global
        .offset:         104
        .size:           8
        .value_kind:     global_buffer
      - .offset:         112
        .size:           8
        .value_kind:     by_value
      - .offset:         120
        .size:           4
        .value_kind:     by_value
      - .offset:         124
        .size:           4
        .value_kind:     by_value
      - .offset:         128
        .size:           8
        .value_kind:     by_value
      - .offset:         136
        .size:           4
        .value_kind:     hidden_block_count_x
      - .offset:         140
        .size:           4
        .value_kind:     hidden_block_count_y
      - .offset:         144
        .size:           4
        .value_kind:     hidden_block_count_z
      - .offset:         148
        .size:           2
        .value_kind:     hidden_group_size_x
      - .offset:         150
        .size:           2
        .value_kind:     hidden_group_size_y
      - .offset:         152
        .size:           2
        .value_kind:     hidden_group_size_z
      - .offset:         154
        .size:           2
        .value_kind:     hidden_remainder_x
      - .offset:         156
        .size:           2
        .value_kind:     hidden_remainder_y
      - .offset:         158
        .size:           2
        .value_kind:     hidden_remainder_z
      - .offset:         176
        .size:           8
        .value_kind:     hidden_global_offset_x
      - .offset:         184
        .size:           8
        .value_kind:     hidden_global_offset_y
      - .offset:         192
        .size:           8
        .value_kind:     hidden_global_offset_z
      - .offset:         200
        .size:           2
        .value_kind:     hidden_grid_dims
    .group_segment_fixed_size: 20480
    .kernarg_segment_align: 8
    .kernarg_segment_size: 392
    .language:       OpenCL C
    .language_version:
      - 2
      - 0
    .max_flat_workgroup_size: 1024
    .name:           _ZN9rocsolver6v33100L16mfma_gemm_kernelI19rocblas_complex_numIfEiS3_PS3_S4_PKS4_EEv18rocblas_operation_S7_T0_S8_S8_T1_T2_lS8_S8_lT3_lS8_S8_lS9_T4_lS8_S8_l
    .private_segment_fixed_size: 0
    .sgpr_count:     46
    .sgpr_spill_count: 0
    .symbol:         _ZN9rocsolver6v33100L16mfma_gemm_kernelI19rocblas_complex_numIfEiS3_PS3_S4_PKS4_EEv18rocblas_operation_S7_T0_S8_S8_T1_T2_lS8_S8_lT3_lS8_S8_lS9_T4_lS8_S8_l.kd
    .uniform_work_group_size: 1
    .uses_dynamic_stack: false
    .vgpr_count:     50
    .vgpr_spill_count: 0
    .wavefront_size: 64
  - .agpr_count:     0
    .args:
      - .offset:         0
        .size:           4
        .value_kind:     by_value
      - .offset:         4
        .size:           4
        .value_kind:     by_value
      - .offset:         8
        .size:           4
        .value_kind:     by_value
      - .address_space:  global
        .offset:         16
        .size:           8
        .value_kind:     global_buffer
      - .offset:         24
        .size:           1
        .value_kind:     by_value
      - .address_space:  global
        .offset:         32
        .size:           8
        .value_kind:     global_buffer
      - .offset:         40
        .size:           8
        .value_kind:     by_value
      - .offset:         48
        .size:           4
        .value_kind:     by_value
      - .offset:         52
        .size:           4
        .value_kind:     by_value
      - .offset:         56
        .size:           8
        .value_kind:     by_value
      - .offset:         64
        .size:           1
        .value_kind:     by_value
      - .address_space:  global
        .offset:         72
        .size:           8
        .value_kind:     global_buffer
      - .offset:         80
        .size:           8
        .value_kind:     by_value
      - .offset:         88
        .size:           4
        .value_kind:     by_value
      - .offset:         92
        .size:           4
        .value_kind:     by_value
      - .offset:         96
        .size:           8
        .value_kind:     by_value
      - .address_space:  global
        .offset:         104
        .size:           8
        .value_kind:     global_buffer
      - .address_space:  global
        .offset:         112
        .size:           8
        .value_kind:     global_buffer
      - .offset:         120
        .size:           8
        .value_kind:     by_value
      - .offset:         128
        .size:           4
        .value_kind:     by_value
      - .offset:         132
        .size:           4
        .value_kind:     by_value
      - .offset:         136
        .size:           8
        .value_kind:     by_value
      - .offset:         144
        .size:           4
        .value_kind:     hidden_block_count_x
      - .offset:         148
        .size:           4
        .value_kind:     hidden_block_count_y
      - .offset:         152
        .size:           4
        .value_kind:     hidden_block_count_z
      - .offset:         156
        .size:           2
        .value_kind:     hidden_group_size_x
      - .offset:         158
        .size:           2
        .value_kind:     hidden_group_size_y
      - .offset:         160
        .size:           2
        .value_kind:     hidden_group_size_z
      - .offset:         162
        .size:           2
        .value_kind:     hidden_remainder_x
      - .offset:         164
        .size:           2
        .value_kind:     hidden_remainder_y
      - .offset:         166
        .size:           2
        .value_kind:     hidden_remainder_z
      - .offset:         184
        .size:           8
        .value_kind:     hidden_global_offset_x
      - .offset:         192
        .size:           8
        .value_kind:     hidden_global_offset_y
      - .offset:         200
        .size:           8
        .value_kind:     hidden_global_offset_z
      - .offset:         208
        .size:           2
        .value_kind:     hidden_grid_dims
    .group_segment_fixed_size: 0
    .kernarg_segment_align: 8
    .kernarg_segment_size: 400
    .language:       OpenCL C
    .language_version:
      - 2
      - 0
    .max_flat_workgroup_size: 1024
    .name:           _ZN9rocsolver6v33100L11gemm_kernelI19rocblas_complex_numIfEiPKS3_PS3_S6_PKS6_EEvT0_S9_S9_T1_bT2_lS9_S9_lbT3_lS9_S9_lSA_T4_lS9_S9_l
    .private_segment_fixed_size: 0
    .sgpr_count:     44
    .sgpr_spill_count: 0
    .symbol:         _ZN9rocsolver6v33100L11gemm_kernelI19rocblas_complex_numIfEiPKS3_PS3_S6_PKS6_EEvT0_S9_S9_T1_bT2_lS9_S9_lbT3_lS9_S9_lSA_T4_lS9_S9_l.kd
    .uniform_work_group_size: 1
    .uses_dynamic_stack: false
    .vgpr_count:     14
    .vgpr_spill_count: 0
    .wavefront_size: 64
  - .agpr_count:     0
    .args:
      - .offset:         0
        .size:           4
        .value_kind:     by_value
      - .offset:         4
        .size:           4
        .value_kind:     by_value
      - .offset:         8
        .size:           4
        .value_kind:     by_value
      - .offset:         12
        .size:           8
        .value_kind:     by_value
      - .offset:         20
        .size:           1
        .value_kind:     by_value
      - .address_space:  global
        .offset:         24
        .size:           8
        .value_kind:     global_buffer
      - .offset:         32
        .size:           8
        .value_kind:     by_value
      - .offset:         40
        .size:           4
        .value_kind:     by_value
      - .offset:         44
        .size:           4
        .value_kind:     by_value
      - .offset:         48
        .size:           8
        .value_kind:     by_value
      - .offset:         56
        .size:           1
        .value_kind:     by_value
      - .address_space:  global
        .offset:         64
        .size:           8
        .value_kind:     global_buffer
      - .offset:         72
        .size:           8
        .value_kind:     by_value
      - .offset:         80
        .size:           4
        .value_kind:     by_value
      - .offset:         84
        .size:           4
        .value_kind:     by_value
      - .offset:         88
        .size:           8
        .value_kind:     by_value
      - .offset:         96
        .size:           8
        .value_kind:     by_value
      - .address_space:  global
        .offset:         104
        .size:           8
        .value_kind:     global_buffer
      - .offset:         112
        .size:           8
        .value_kind:     by_value
      - .offset:         120
        .size:           4
        .value_kind:     by_value
      - .offset:         124
        .size:           4
        .value_kind:     by_value
      - .offset:         128
        .size:           8
        .value_kind:     by_value
      - .offset:         136
        .size:           4
        .value_kind:     hidden_block_count_x
      - .offset:         140
        .size:           4
        .value_kind:     hidden_block_count_y
      - .offset:         144
        .size:           4
        .value_kind:     hidden_block_count_z
      - .offset:         148
        .size:           2
        .value_kind:     hidden_group_size_x
      - .offset:         150
        .size:           2
        .value_kind:     hidden_group_size_y
      - .offset:         152
        .size:           2
        .value_kind:     hidden_group_size_z
      - .offset:         154
        .size:           2
        .value_kind:     hidden_remainder_x
      - .offset:         156
        .size:           2
        .value_kind:     hidden_remainder_y
      - .offset:         158
        .size:           2
        .value_kind:     hidden_remainder_z
      - .offset:         176
        .size:           8
        .value_kind:     hidden_global_offset_x
      - .offset:         184
        .size:           8
        .value_kind:     hidden_global_offset_y
      - .offset:         192
        .size:           8
        .value_kind:     hidden_global_offset_z
      - .offset:         200
        .size:           2
        .value_kind:     hidden_grid_dims
    .group_segment_fixed_size: 0
    .kernarg_segment_align: 8
    .kernarg_segment_size: 392
    .language:       OpenCL C
    .language_version:
      - 2
      - 0
    .max_flat_workgroup_size: 1024
    .name:           _ZN9rocsolver6v33100L11gemm_kernelI19rocblas_complex_numIfEiS3_PS3_S4_PKS4_EEvT0_S7_S7_T1_bT2_lS7_S7_lbT3_lS7_S7_lS8_T4_lS7_S7_l
    .private_segment_fixed_size: 0
    .sgpr_count:     40
    .sgpr_spill_count: 0
    .symbol:         _ZN9rocsolver6v33100L11gemm_kernelI19rocblas_complex_numIfEiS3_PS3_S4_PKS4_EEvT0_S7_S7_T1_bT2_lS7_S7_lbT3_lS7_S7_lS8_T4_lS7_S7_l.kd
    .uniform_work_group_size: 1
    .uses_dynamic_stack: false
    .vgpr_count:     14
    .vgpr_spill_count: 0
    .wavefront_size: 64
  - .agpr_count:     0
    .args:
      - .offset:         0
        .size:           4
        .value_kind:     by_value
      - .offset:         4
        .size:           4
        .value_kind:     by_value
      - .offset:         8
        .size:           8
        .value_kind:     by_value
      - .offset:         16
        .size:           8
        .value_kind:     by_value
      - .offset:         24
        .size:           8
        .value_kind:     by_value
      - .address_space:  global
        .offset:         32
        .size:           8
        .value_kind:     global_buffer
      - .address_space:  global
        .offset:         40
        .size:           8
        .value_kind:     global_buffer
      - .offset:         48
        .size:           8
        .value_kind:     by_value
      - .offset:         56
        .size:           8
        .value_kind:     by_value
      - .offset:         64
        .size:           8
        .value_kind:     by_value
      - .offset:         72
        .size:           8
        .value_kind:     by_value
      - .address_space:  global
        .offset:         80
        .size:           8
        .value_kind:     global_buffer
      - .offset:         88
        .size:           8
        .value_kind:     by_value
      - .offset:         96
        .size:           8
        .value_kind:     by_value
      - .offset:         104
        .size:           8
        .value_kind:     by_value
      - .offset:         112
        .size:           8
        .value_kind:     by_value
      - .address_space:  global
        .offset:         120
        .size:           8
        .value_kind:     global_buffer
      - .address_space:  global
        .offset:         128
        .size:           8
        .value_kind:     global_buffer
      - .offset:         136
        .size:           8
        .value_kind:     by_value
      - .offset:         144
        .size:           8
        .value_kind:     by_value
      - .offset:         152
        .size:           8
        .value_kind:     by_value
      - .offset:         160
        .size:           8
        .value_kind:     by_value
      - .offset:         168
        .size:           4
        .value_kind:     hidden_block_count_x
      - .offset:         172
        .size:           4
        .value_kind:     hidden_block_count_y
      - .offset:         176
        .size:           4
        .value_kind:     hidden_block_count_z
      - .offset:         180
        .size:           2
        .value_kind:     hidden_group_size_x
      - .offset:         182
        .size:           2
        .value_kind:     hidden_group_size_y
      - .offset:         184
        .size:           2
        .value_kind:     hidden_group_size_z
      - .offset:         186
        .size:           2
        .value_kind:     hidden_remainder_x
      - .offset:         188
        .size:           2
        .value_kind:     hidden_remainder_y
      - .offset:         190
        .size:           2
        .value_kind:     hidden_remainder_z
      - .offset:         208
        .size:           8
        .value_kind:     hidden_global_offset_x
      - .offset:         216
        .size:           8
        .value_kind:     hidden_global_offset_y
      - .offset:         224
        .size:           8
        .value_kind:     hidden_global_offset_z
      - .offset:         232
        .size:           2
        .value_kind:     hidden_grid_dims
    .group_segment_fixed_size: 20480
    .kernarg_segment_align: 8
    .kernarg_segment_size: 424
    .language:       OpenCL C
    .language_version:
      - 2
      - 0
    .max_flat_workgroup_size: 1024
    .name:           _ZN9rocsolver6v33100L16mfma_gemm_kernelI19rocblas_complex_numIfElPKS3_PS3_S6_S6_EEv18rocblas_operation_S7_T0_S8_S8_T1_T2_lS8_S8_lT3_lS8_S8_lS9_T4_lS8_S8_l
    .private_segment_fixed_size: 0
    .sgpr_count:     58
    .sgpr_spill_count: 0
    .symbol:         _ZN9rocsolver6v33100L16mfma_gemm_kernelI19rocblas_complex_numIfElPKS3_PS3_S6_S6_EEv18rocblas_operation_S7_T0_S8_S8_T1_T2_lS8_S8_lT3_lS8_S8_lS9_T4_lS8_S8_l.kd
    .uniform_work_group_size: 1
    .uses_dynamic_stack: false
    .vgpr_count:     51
    .vgpr_spill_count: 0
    .wavefront_size: 64
  - .agpr_count:     0
    .args:
      - .offset:         0
        .size:           4
        .value_kind:     by_value
      - .offset:         4
        .size:           4
        .value_kind:     by_value
      - .offset:         8
        .size:           8
        .value_kind:     by_value
      - .offset:         16
        .size:           8
        .value_kind:     by_value
      - .offset:         24
        .size:           8
        .value_kind:     by_value
      - .offset:         32
        .size:           8
        .value_kind:     by_value
      - .address_space:  global
        .offset:         40
        .size:           8
        .value_kind:     global_buffer
      - .offset:         48
        .size:           8
        .value_kind:     by_value
      - .offset:         56
        .size:           8
        .value_kind:     by_value
      - .offset:         64
        .size:           8
        .value_kind:     by_value
      - .offset:         72
        .size:           8
        .value_kind:     by_value
      - .address_space:  global
        .offset:         80
        .size:           8
        .value_kind:     global_buffer
      - .offset:         88
        .size:           8
        .value_kind:     by_value
      - .offset:         96
        .size:           8
        .value_kind:     by_value
      - .offset:         104
        .size:           8
        .value_kind:     by_value
      - .offset:         112
        .size:           8
        .value_kind:     by_value
      - .offset:         120
        .size:           8
        .value_kind:     by_value
      - .address_space:  global
        .offset:         128
        .size:           8
        .value_kind:     global_buffer
      - .offset:         136
        .size:           8
        .value_kind:     by_value
      - .offset:         144
        .size:           8
        .value_kind:     by_value
      - .offset:         152
        .size:           8
        .value_kind:     by_value
      - .offset:         160
        .size:           8
        .value_kind:     by_value
      - .offset:         168
        .size:           4
        .value_kind:     hidden_block_count_x
      - .offset:         172
        .size:           4
        .value_kind:     hidden_block_count_y
      - .offset:         176
        .size:           4
        .value_kind:     hidden_block_count_z
      - .offset:         180
        .size:           2
        .value_kind:     hidden_group_size_x
      - .offset:         182
        .size:           2
        .value_kind:     hidden_group_size_y
      - .offset:         184
        .size:           2
        .value_kind:     hidden_group_size_z
      - .offset:         186
        .size:           2
        .value_kind:     hidden_remainder_x
      - .offset:         188
        .size:           2
        .value_kind:     hidden_remainder_y
      - .offset:         190
        .size:           2
        .value_kind:     hidden_remainder_z
      - .offset:         208
        .size:           8
        .value_kind:     hidden_global_offset_x
      - .offset:         216
        .size:           8
        .value_kind:     hidden_global_offset_y
      - .offset:         224
        .size:           8
        .value_kind:     hidden_global_offset_z
      - .offset:         232
        .size:           2
        .value_kind:     hidden_grid_dims
    .group_segment_fixed_size: 20480
    .kernarg_segment_align: 8
    .kernarg_segment_size: 424
    .language:       OpenCL C
    .language_version:
      - 2
      - 0
    .max_flat_workgroup_size: 1024
    .name:           _ZN9rocsolver6v33100L16mfma_gemm_kernelI19rocblas_complex_numIfElS3_PS3_S4_S4_EEv18rocblas_operation_S5_T0_S6_S6_T1_T2_lS6_S6_lT3_lS6_S6_lS7_T4_lS6_S6_l
    .private_segment_fixed_size: 0
    .sgpr_count:     56
    .sgpr_spill_count: 0
    .symbol:         _ZN9rocsolver6v33100L16mfma_gemm_kernelI19rocblas_complex_numIfElS3_PS3_S4_S4_EEv18rocblas_operation_S5_T0_S6_S6_T1_T2_lS6_S6_lT3_lS6_S6_lS7_T4_lS6_S6_l.kd
    .uniform_work_group_size: 1
    .uses_dynamic_stack: false
    .vgpr_count:     51
    .vgpr_spill_count: 0
    .wavefront_size: 64
  - .agpr_count:     0
    .args:
      - .offset:         0
        .size:           8
        .value_kind:     by_value
      - .offset:         8
        .size:           8
        .value_kind:     by_value
      - .offset:         16
        .size:           8
        .value_kind:     by_value
      - .address_space:  global
        .offset:         24
        .size:           8
        .value_kind:     global_buffer
      - .offset:         32
        .size:           1
        .value_kind:     by_value
      - .address_space:  global
        .offset:         40
        .size:           8
        .value_kind:     global_buffer
      - .offset:         48
        .size:           8
        .value_kind:     by_value
      - .offset:         56
        .size:           8
        .value_kind:     by_value
      - .offset:         64
        .size:           8
        .value_kind:     by_value
      - .offset:         72
        .size:           8
        .value_kind:     by_value
      - .offset:         80
        .size:           1
        .value_kind:     by_value
      - .address_space:  global
        .offset:         88
        .size:           8
        .value_kind:     global_buffer
      - .offset:         96
        .size:           8
        .value_kind:     by_value
      - .offset:         104
        .size:           8
        .value_kind:     by_value
      - .offset:         112
        .size:           8
        .value_kind:     by_value
      - .offset:         120
        .size:           8
        .value_kind:     by_value
      - .address_space:  global
        .offset:         128
        .size:           8
        .value_kind:     global_buffer
      - .address_space:  global
        .offset:         136
        .size:           8
        .value_kind:     global_buffer
      - .offset:         144
        .size:           8
        .value_kind:     by_value
      - .offset:         152
        .size:           8
        .value_kind:     by_value
      - .offset:         160
        .size:           8
        .value_kind:     by_value
      - .offset:         168
        .size:           8
        .value_kind:     by_value
      - .offset:         176
        .size:           4
        .value_kind:     hidden_block_count_x
      - .offset:         180
        .size:           4
        .value_kind:     hidden_block_count_y
      - .offset:         184
        .size:           4
        .value_kind:     hidden_block_count_z
      - .offset:         188
        .size:           2
        .value_kind:     hidden_group_size_x
      - .offset:         190
        .size:           2
        .value_kind:     hidden_group_size_y
      - .offset:         192
        .size:           2
        .value_kind:     hidden_group_size_z
      - .offset:         194
        .size:           2
        .value_kind:     hidden_remainder_x
      - .offset:         196
        .size:           2
        .value_kind:     hidden_remainder_y
      - .offset:         198
        .size:           2
        .value_kind:     hidden_remainder_z
      - .offset:         216
        .size:           8
        .value_kind:     hidden_global_offset_x
      - .offset:         224
        .size:           8
        .value_kind:     hidden_global_offset_y
      - .offset:         232
        .size:           8
        .value_kind:     hidden_global_offset_z
      - .offset:         240
        .size:           2
        .value_kind:     hidden_grid_dims
    .group_segment_fixed_size: 0
    .kernarg_segment_align: 8
    .kernarg_segment_size: 432
    .language:       OpenCL C
    .language_version:
      - 2
      - 0
    .max_flat_workgroup_size: 1024
    .name:           _ZN9rocsolver6v33100L11gemm_kernelI19rocblas_complex_numIfElPKS3_PS3_S6_S6_EEvT0_S7_S7_T1_bT2_lS7_S7_lbT3_lS7_S7_lS8_T4_lS7_S7_l
    .private_segment_fixed_size: 0
    .sgpr_count:     48
    .sgpr_spill_count: 0
    .symbol:         _ZN9rocsolver6v33100L11gemm_kernelI19rocblas_complex_numIfElPKS3_PS3_S6_S6_EEvT0_S7_S7_T1_bT2_lS7_S7_lbT3_lS7_S7_lS8_T4_lS7_S7_l.kd
    .uniform_work_group_size: 1
    .uses_dynamic_stack: false
    .vgpr_count:     17
    .vgpr_spill_count: 0
    .wavefront_size: 64
  - .agpr_count:     0
    .args:
      - .offset:         0
        .size:           8
        .value_kind:     by_value
      - .offset:         8
        .size:           8
        .value_kind:     by_value
      - .offset:         16
        .size:           8
        .value_kind:     by_value
      - .offset:         24
        .size:           8
        .value_kind:     by_value
      - .offset:         32
        .size:           1
        .value_kind:     by_value
      - .address_space:  global
        .offset:         40
        .size:           8
        .value_kind:     global_buffer
      - .offset:         48
        .size:           8
        .value_kind:     by_value
      - .offset:         56
        .size:           8
        .value_kind:     by_value
      - .offset:         64
        .size:           8
        .value_kind:     by_value
      - .offset:         72
        .size:           8
        .value_kind:     by_value
      - .offset:         80
        .size:           1
        .value_kind:     by_value
      - .address_space:  global
        .offset:         88
        .size:           8
        .value_kind:     global_buffer
      - .offset:         96
        .size:           8
        .value_kind:     by_value
      - .offset:         104
        .size:           8
        .value_kind:     by_value
      - .offset:         112
        .size:           8
        .value_kind:     by_value
      - .offset:         120
        .size:           8
        .value_kind:     by_value
      - .offset:         128
        .size:           8
        .value_kind:     by_value
      - .address_space:  global
        .offset:         136
        .size:           8
        .value_kind:     global_buffer
      - .offset:         144
        .size:           8
        .value_kind:     by_value
      - .offset:         152
        .size:           8
        .value_kind:     by_value
      - .offset:         160
        .size:           8
        .value_kind:     by_value
      - .offset:         168
        .size:           8
        .value_kind:     by_value
      - .offset:         176
        .size:           4
        .value_kind:     hidden_block_count_x
      - .offset:         180
        .size:           4
        .value_kind:     hidden_block_count_y
      - .offset:         184
        .size:           4
        .value_kind:     hidden_block_count_z
      - .offset:         188
        .size:           2
        .value_kind:     hidden_group_size_x
      - .offset:         190
        .size:           2
        .value_kind:     hidden_group_size_y
      - .offset:         192
        .size:           2
        .value_kind:     hidden_group_size_z
      - .offset:         194
        .size:           2
        .value_kind:     hidden_remainder_x
      - .offset:         196
        .size:           2
        .value_kind:     hidden_remainder_y
      - .offset:         198
        .size:           2
        .value_kind:     hidden_remainder_z
      - .offset:         216
        .size:           8
        .value_kind:     hidden_global_offset_x
      - .offset:         224
        .size:           8
        .value_kind:     hidden_global_offset_y
      - .offset:         232
        .size:           8
        .value_kind:     hidden_global_offset_z
      - .offset:         240
        .size:           2
        .value_kind:     hidden_grid_dims
    .group_segment_fixed_size: 0
    .kernarg_segment_align: 8
    .kernarg_segment_size: 432
    .language:       OpenCL C
    .language_version:
      - 2
      - 0
    .max_flat_workgroup_size: 1024
    .name:           _ZN9rocsolver6v33100L11gemm_kernelI19rocblas_complex_numIfElS3_PS3_S4_S4_EEvT0_S5_S5_T1_bT2_lS5_S5_lbT3_lS5_S5_lS6_T4_lS5_S5_l
    .private_segment_fixed_size: 0
    .sgpr_count:     40
    .sgpr_spill_count: 0
    .symbol:         _ZN9rocsolver6v33100L11gemm_kernelI19rocblas_complex_numIfElS3_PS3_S4_S4_EEvT0_S5_S5_T1_bT2_lS5_S5_lbT3_lS5_S5_lS6_T4_lS5_S5_l.kd
    .uniform_work_group_size: 1
    .uses_dynamic_stack: false
    .vgpr_count:     17
    .vgpr_spill_count: 0
    .wavefront_size: 64
  - .agpr_count:     0
    .args:
      - .offset:         0
        .size:           4
        .value_kind:     by_value
      - .offset:         4
        .size:           4
        .value_kind:     by_value
      - .offset:         8
        .size:           8
        .value_kind:     by_value
      - .offset:         16
        .size:           8
        .value_kind:     by_value
      - .offset:         24
        .size:           8
        .value_kind:     by_value
      - .address_space:  global
        .offset:         32
        .size:           8
        .value_kind:     global_buffer
      - .address_space:  global
        .offset:         40
        .size:           8
        .value_kind:     global_buffer
      - .offset:         48
        .size:           8
        .value_kind:     by_value
      - .offset:         56
        .size:           8
        .value_kind:     by_value
      - .offset:         64
        .size:           8
        .value_kind:     by_value
      - .offset:         72
        .size:           8
        .value_kind:     by_value
      - .address_space:  global
        .offset:         80
        .size:           8
        .value_kind:     global_buffer
      - .offset:         88
        .size:           8
        .value_kind:     by_value
      - .offset:         96
        .size:           8
        .value_kind:     by_value
      - .offset:         104
        .size:           8
        .value_kind:     by_value
      - .offset:         112
        .size:           8
        .value_kind:     by_value
      - .address_space:  global
        .offset:         120
        .size:           8
        .value_kind:     global_buffer
      - .address_space:  global
        .offset:         128
        .size:           8
        .value_kind:     global_buffer
      - .offset:         136
        .size:           8
        .value_kind:     by_value
      - .offset:         144
        .size:           8
        .value_kind:     by_value
      - .offset:         152
        .size:           8
        .value_kind:     by_value
      - .offset:         160
        .size:           8
        .value_kind:     by_value
      - .offset:         168
        .size:           4
        .value_kind:     hidden_block_count_x
      - .offset:         172
        .size:           4
        .value_kind:     hidden_block_count_y
      - .offset:         176
        .size:           4
        .value_kind:     hidden_block_count_z
      - .offset:         180
        .size:           2
        .value_kind:     hidden_group_size_x
      - .offset:         182
        .size:           2
        .value_kind:     hidden_group_size_y
      - .offset:         184
        .size:           2
        .value_kind:     hidden_group_size_z
      - .offset:         186
        .size:           2
        .value_kind:     hidden_remainder_x
      - .offset:         188
        .size:           2
        .value_kind:     hidden_remainder_y
      - .offset:         190
        .size:           2
        .value_kind:     hidden_remainder_z
      - .offset:         208
        .size:           8
        .value_kind:     hidden_global_offset_x
      - .offset:         216
        .size:           8
        .value_kind:     hidden_global_offset_y
      - .offset:         224
        .size:           8
        .value_kind:     hidden_global_offset_z
      - .offset:         232
        .size:           2
        .value_kind:     hidden_grid_dims
    .group_segment_fixed_size: 20480
    .kernarg_segment_align: 8
    .kernarg_segment_size: 424
    .language:       OpenCL C
    .language_version:
      - 2
      - 0
    .max_flat_workgroup_size: 1024
    .name:           _ZN9rocsolver6v33100L16mfma_gemm_kernelI19rocblas_complex_numIfElPKS3_PKPS3_S8_S8_EEv18rocblas_operation_S9_T0_SA_SA_T1_T2_lSA_SA_lT3_lSA_SA_lSB_T4_lSA_SA_l
    .private_segment_fixed_size: 0
    .sgpr_count:     55
    .sgpr_spill_count: 0
    .symbol:         _ZN9rocsolver6v33100L16mfma_gemm_kernelI19rocblas_complex_numIfElPKS3_PKPS3_S8_S8_EEv18rocblas_operation_S9_T0_SA_SA_T1_T2_lSA_SA_lT3_lSA_SA_lSB_T4_lSA_SA_l.kd
    .uniform_work_group_size: 1
    .uses_dynamic_stack: false
    .vgpr_count:     51
    .vgpr_spill_count: 0
    .wavefront_size: 64
  - .agpr_count:     0
    .args:
      - .offset:         0
        .size:           4
        .value_kind:     by_value
      - .offset:         4
        .size:           4
        .value_kind:     by_value
      - .offset:         8
        .size:           8
        .value_kind:     by_value
      - .offset:         16
        .size:           8
        .value_kind:     by_value
      - .offset:         24
        .size:           8
        .value_kind:     by_value
      - .offset:         32
        .size:           8
        .value_kind:     by_value
      - .address_space:  global
        .offset:         40
        .size:           8
        .value_kind:     global_buffer
      - .offset:         48
        .size:           8
        .value_kind:     by_value
      - .offset:         56
        .size:           8
        .value_kind:     by_value
      - .offset:         64
        .size:           8
        .value_kind:     by_value
      - .offset:         72
        .size:           8
        .value_kind:     by_value
      - .address_space:  global
        .offset:         80
        .size:           8
        .value_kind:     global_buffer
      - .offset:         88
        .size:           8
        .value_kind:     by_value
      - .offset:         96
        .size:           8
        .value_kind:     by_value
      - .offset:         104
        .size:           8
        .value_kind:     by_value
      - .offset:         112
        .size:           8
        .value_kind:     by_value
      - .offset:         120
        .size:           8
        .value_kind:     by_value
      - .address_space:  global
        .offset:         128
        .size:           8
        .value_kind:     global_buffer
      - .offset:         136
        .size:           8
        .value_kind:     by_value
      - .offset:         144
        .size:           8
        .value_kind:     by_value
      - .offset:         152
        .size:           8
        .value_kind:     by_value
      - .offset:         160
        .size:           8
        .value_kind:     by_value
      - .offset:         168
        .size:           4
        .value_kind:     hidden_block_count_x
      - .offset:         172
        .size:           4
        .value_kind:     hidden_block_count_y
      - .offset:         176
        .size:           4
        .value_kind:     hidden_block_count_z
      - .offset:         180
        .size:           2
        .value_kind:     hidden_group_size_x
      - .offset:         182
        .size:           2
        .value_kind:     hidden_group_size_y
      - .offset:         184
        .size:           2
        .value_kind:     hidden_group_size_z
      - .offset:         186
        .size:           2
        .value_kind:     hidden_remainder_x
      - .offset:         188
        .size:           2
        .value_kind:     hidden_remainder_y
      - .offset:         190
        .size:           2
        .value_kind:     hidden_remainder_z
      - .offset:         208
        .size:           8
        .value_kind:     hidden_global_offset_x
      - .offset:         216
        .size:           8
        .value_kind:     hidden_global_offset_y
      - .offset:         224
        .size:           8
        .value_kind:     hidden_global_offset_z
      - .offset:         232
        .size:           2
        .value_kind:     hidden_grid_dims
    .group_segment_fixed_size: 20480
    .kernarg_segment_align: 8
    .kernarg_segment_size: 424
    .language:       OpenCL C
    .language_version:
      - 2
      - 0
    .max_flat_workgroup_size: 1024
    .name:           _ZN9rocsolver6v33100L16mfma_gemm_kernelI19rocblas_complex_numIfElS3_PKPS3_S6_S6_EEv18rocblas_operation_S7_T0_S8_S8_T1_T2_lS8_S8_lT3_lS8_S8_lS9_T4_lS8_S8_l
    .private_segment_fixed_size: 0
    .sgpr_count:     57
    .sgpr_spill_count: 0
    .symbol:         _ZN9rocsolver6v33100L16mfma_gemm_kernelI19rocblas_complex_numIfElS3_PKPS3_S6_S6_EEv18rocblas_operation_S7_T0_S8_S8_T1_T2_lS8_S8_lT3_lS8_S8_lS9_T4_lS8_S8_l.kd
    .uniform_work_group_size: 1
    .uses_dynamic_stack: false
    .vgpr_count:     51
    .vgpr_spill_count: 0
    .wavefront_size: 64
  - .agpr_count:     0
    .args:
      - .offset:         0
        .size:           8
        .value_kind:     by_value
      - .offset:         8
        .size:           8
        .value_kind:     by_value
      - .offset:         16
        .size:           8
        .value_kind:     by_value
      - .address_space:  global
        .offset:         24
        .size:           8
        .value_kind:     global_buffer
      - .offset:         32
        .size:           1
        .value_kind:     by_value
      - .address_space:  global
        .offset:         40
        .size:           8
        .value_kind:     global_buffer
      - .offset:         48
        .size:           8
        .value_kind:     by_value
      - .offset:         56
        .size:           8
        .value_kind:     by_value
      - .offset:         64
        .size:           8
        .value_kind:     by_value
      - .offset:         72
        .size:           8
        .value_kind:     by_value
      - .offset:         80
        .size:           1
        .value_kind:     by_value
      - .address_space:  global
        .offset:         88
        .size:           8
        .value_kind:     global_buffer
      - .offset:         96
        .size:           8
        .value_kind:     by_value
      - .offset:         104
        .size:           8
        .value_kind:     by_value
      - .offset:         112
        .size:           8
        .value_kind:     by_value
      - .offset:         120
        .size:           8
        .value_kind:     by_value
      - .address_space:  global
        .offset:         128
        .size:           8
        .value_kind:     global_buffer
      - .address_space:  global
        .offset:         136
        .size:           8
        .value_kind:     global_buffer
      - .offset:         144
        .size:           8
        .value_kind:     by_value
      - .offset:         152
        .size:           8
        .value_kind:     by_value
      - .offset:         160
        .size:           8
        .value_kind:     by_value
      - .offset:         168
        .size:           8
        .value_kind:     by_value
      - .offset:         176
        .size:           4
        .value_kind:     hidden_block_count_x
      - .offset:         180
        .size:           4
        .value_kind:     hidden_block_count_y
      - .offset:         184
        .size:           4
        .value_kind:     hidden_block_count_z
      - .offset:         188
        .size:           2
        .value_kind:     hidden_group_size_x
      - .offset:         190
        .size:           2
        .value_kind:     hidden_group_size_y
      - .offset:         192
        .size:           2
        .value_kind:     hidden_group_size_z
      - .offset:         194
        .size:           2
        .value_kind:     hidden_remainder_x
      - .offset:         196
        .size:           2
        .value_kind:     hidden_remainder_y
      - .offset:         198
        .size:           2
        .value_kind:     hidden_remainder_z
      - .offset:         216
        .size:           8
        .value_kind:     hidden_global_offset_x
      - .offset:         224
        .size:           8
        .value_kind:     hidden_global_offset_y
      - .offset:         232
        .size:           8
        .value_kind:     hidden_global_offset_z
      - .offset:         240
        .size:           2
        .value_kind:     hidden_grid_dims
    .group_segment_fixed_size: 0
    .kernarg_segment_align: 8
    .kernarg_segment_size: 432
    .language:       OpenCL C
    .language_version:
      - 2
      - 0
    .max_flat_workgroup_size: 1024
    .name:           _ZN9rocsolver6v33100L11gemm_kernelI19rocblas_complex_numIfElPKS3_PKPS3_S8_S8_EEvT0_S9_S9_T1_bT2_lS9_S9_lbT3_lS9_S9_lSA_T4_lS9_S9_l
    .private_segment_fixed_size: 0
    .sgpr_count:     48
    .sgpr_spill_count: 0
    .symbol:         _ZN9rocsolver6v33100L11gemm_kernelI19rocblas_complex_numIfElPKS3_PKPS3_S8_S8_EEvT0_S9_S9_T1_bT2_lS9_S9_lbT3_lS9_S9_lSA_T4_lS9_S9_l.kd
    .uniform_work_group_size: 1
    .uses_dynamic_stack: false
    .vgpr_count:     17
    .vgpr_spill_count: 0
    .wavefront_size: 64
  - .agpr_count:     0
    .args:
      - .offset:         0
        .size:           8
        .value_kind:     by_value
      - .offset:         8
        .size:           8
        .value_kind:     by_value
      - .offset:         16
        .size:           8
        .value_kind:     by_value
      - .offset:         24
        .size:           8
        .value_kind:     by_value
      - .offset:         32
        .size:           1
        .value_kind:     by_value
      - .address_space:  global
        .offset:         40
        .size:           8
        .value_kind:     global_buffer
      - .offset:         48
        .size:           8
        .value_kind:     by_value
      - .offset:         56
        .size:           8
        .value_kind:     by_value
      - .offset:         64
        .size:           8
        .value_kind:     by_value
      - .offset:         72
        .size:           8
        .value_kind:     by_value
      - .offset:         80
        .size:           1
        .value_kind:     by_value
      - .address_space:  global
        .offset:         88
        .size:           8
        .value_kind:     global_buffer
      - .offset:         96
        .size:           8
        .value_kind:     by_value
      - .offset:         104
        .size:           8
        .value_kind:     by_value
      - .offset:         112
        .size:           8
        .value_kind:     by_value
      - .offset:         120
        .size:           8
        .value_kind:     by_value
      - .offset:         128
        .size:           8
        .value_kind:     by_value
      - .address_space:  global
        .offset:         136
        .size:           8
        .value_kind:     global_buffer
      - .offset:         144
        .size:           8
        .value_kind:     by_value
      - .offset:         152
        .size:           8
        .value_kind:     by_value
      - .offset:         160
        .size:           8
        .value_kind:     by_value
      - .offset:         168
        .size:           8
        .value_kind:     by_value
      - .offset:         176
        .size:           4
        .value_kind:     hidden_block_count_x
      - .offset:         180
        .size:           4
        .value_kind:     hidden_block_count_y
      - .offset:         184
        .size:           4
        .value_kind:     hidden_block_count_z
      - .offset:         188
        .size:           2
        .value_kind:     hidden_group_size_x
      - .offset:         190
        .size:           2
        .value_kind:     hidden_group_size_y
      - .offset:         192
        .size:           2
        .value_kind:     hidden_group_size_z
      - .offset:         194
        .size:           2
        .value_kind:     hidden_remainder_x
      - .offset:         196
        .size:           2
        .value_kind:     hidden_remainder_y
      - .offset:         198
        .size:           2
        .value_kind:     hidden_remainder_z
      - .offset:         216
        .size:           8
        .value_kind:     hidden_global_offset_x
      - .offset:         224
        .size:           8
        .value_kind:     hidden_global_offset_y
      - .offset:         232
        .size:           8
        .value_kind:     hidden_global_offset_z
      - .offset:         240
        .size:           2
        .value_kind:     hidden_grid_dims
    .group_segment_fixed_size: 0
    .kernarg_segment_align: 8
    .kernarg_segment_size: 432
    .language:       OpenCL C
    .language_version:
      - 2
      - 0
    .max_flat_workgroup_size: 1024
    .name:           _ZN9rocsolver6v33100L11gemm_kernelI19rocblas_complex_numIfElS3_PKPS3_S6_S6_EEvT0_S7_S7_T1_bT2_lS7_S7_lbT3_lS7_S7_lS8_T4_lS7_S7_l
    .private_segment_fixed_size: 0
    .sgpr_count:     48
    .sgpr_spill_count: 0
    .symbol:         _ZN9rocsolver6v33100L11gemm_kernelI19rocblas_complex_numIfElS3_PKPS3_S6_S6_EEvT0_S7_S7_T1_bT2_lS7_S7_lbT3_lS7_S7_lS8_T4_lS7_S7_l.kd
    .uniform_work_group_size: 1
    .uses_dynamic_stack: false
    .vgpr_count:     17
    .vgpr_spill_count: 0
    .wavefront_size: 64
  - .agpr_count:     0
    .args:
      - .address_space:  global
        .offset:         0
        .size:           8
        .value_kind:     global_buffer
      - .address_space:  global
        .offset:         8
        .size:           8
        .value_kind:     global_buffer
      - .offset:         16
        .size:           8
        .value_kind:     by_value
      - .offset:         24
        .size:           8
        .value_kind:     by_value
      - .offset:         32
        .size:           4
        .value_kind:     hidden_block_count_x
      - .offset:         36
        .size:           4
        .value_kind:     hidden_block_count_y
      - .offset:         40
        .size:           4
        .value_kind:     hidden_block_count_z
      - .offset:         44
        .size:           2
        .value_kind:     hidden_group_size_x
      - .offset:         46
        .size:           2
        .value_kind:     hidden_group_size_y
      - .offset:         48
        .size:           2
        .value_kind:     hidden_group_size_z
      - .offset:         50
        .size:           2
        .value_kind:     hidden_remainder_x
      - .offset:         52
        .size:           2
        .value_kind:     hidden_remainder_y
      - .offset:         54
        .size:           2
        .value_kind:     hidden_remainder_z
      - .offset:         72
        .size:           8
        .value_kind:     hidden_global_offset_x
      - .offset:         80
        .size:           8
        .value_kind:     hidden_global_offset_y
      - .offset:         88
        .size:           8
        .value_kind:     hidden_global_offset_z
      - .offset:         96
        .size:           2
        .value_kind:     hidden_grid_dims
    .group_segment_fixed_size: 0
    .kernarg_segment_align: 8
    .kernarg_segment_size: 288
    .language:       OpenCL C
    .language_version:
      - 2
      - 0
    .max_flat_workgroup_size: 1024
    .name:           _ZN9rocsolver6v33100L9get_arrayI19rocblas_complex_numIfElEEvPPT_S5_lT0_
    .private_segment_fixed_size: 0
    .sgpr_count:     20
    .sgpr_spill_count: 0
    .symbol:         _ZN9rocsolver6v33100L9get_arrayI19rocblas_complex_numIfElEEvPPT_S5_lT0_.kd
    .uniform_work_group_size: 1
    .uses_dynamic_stack: false
    .vgpr_count:     6
    .vgpr_spill_count: 0
    .wavefront_size: 64
  - .agpr_count:     0
    .args:
      - .offset:         0
        .size:           4
        .value_kind:     by_value
      - .offset:         4
        .size:           4
        .value_kind:     by_value
      - .offset:         8
        .size:           8
        .value_kind:     by_value
      - .offset:         16
        .size:           8
        .value_kind:     by_value
      - .offset:         24
        .size:           8
        .value_kind:     by_value
      - .address_space:  global
        .offset:         32
        .size:           8
        .value_kind:     global_buffer
      - .address_space:  global
        .offset:         40
        .size:           8
        .value_kind:     global_buffer
      - .offset:         48
        .size:           8
        .value_kind:     by_value
      - .offset:         56
        .size:           8
        .value_kind:     by_value
      - .offset:         64
        .size:           8
        .value_kind:     by_value
      - .offset:         72
        .size:           8
        .value_kind:     by_value
      - .address_space:  global
        .offset:         80
        .size:           8
        .value_kind:     global_buffer
      - .offset:         88
        .size:           8
        .value_kind:     by_value
      - .offset:         96
        .size:           8
        .value_kind:     by_value
      - .offset:         104
        .size:           8
        .value_kind:     by_value
      - .offset:         112
        .size:           8
        .value_kind:     by_value
      - .address_space:  global
        .offset:         120
        .size:           8
        .value_kind:     global_buffer
      - .address_space:  global
        .offset:         128
        .size:           8
        .value_kind:     global_buffer
      - .offset:         136
        .size:           8
        .value_kind:     by_value
      - .offset:         144
        .size:           8
        .value_kind:     by_value
      - .offset:         152
        .size:           8
        .value_kind:     by_value
      - .offset:         160
        .size:           8
        .value_kind:     by_value
      - .offset:         168
        .size:           4
        .value_kind:     hidden_block_count_x
      - .offset:         172
        .size:           4
        .value_kind:     hidden_block_count_y
      - .offset:         176
        .size:           4
        .value_kind:     hidden_block_count_z
      - .offset:         180
        .size:           2
        .value_kind:     hidden_group_size_x
      - .offset:         182
        .size:           2
        .value_kind:     hidden_group_size_y
      - .offset:         184
        .size:           2
        .value_kind:     hidden_group_size_z
      - .offset:         186
        .size:           2
        .value_kind:     hidden_remainder_x
      - .offset:         188
        .size:           2
        .value_kind:     hidden_remainder_y
      - .offset:         190
        .size:           2
        .value_kind:     hidden_remainder_z
      - .offset:         208
        .size:           8
        .value_kind:     hidden_global_offset_x
      - .offset:         216
        .size:           8
        .value_kind:     hidden_global_offset_y
      - .offset:         224
        .size:           8
        .value_kind:     hidden_global_offset_z
      - .offset:         232
        .size:           2
        .value_kind:     hidden_grid_dims
    .group_segment_fixed_size: 20480
    .kernarg_segment_align: 8
    .kernarg_segment_size: 424
    .language:       OpenCL C
    .language_version:
      - 2
      - 0
    .max_flat_workgroup_size: 1024
    .name:           _ZN9rocsolver6v33100L16mfma_gemm_kernelI19rocblas_complex_numIfElPKS3_PS3_PKS6_S8_EEv18rocblas_operation_S9_T0_SA_SA_T1_T2_lSA_SA_lT3_lSA_SA_lSB_T4_lSA_SA_l
    .private_segment_fixed_size: 0
    .sgpr_count:     59
    .sgpr_spill_count: 0
    .symbol:         _ZN9rocsolver6v33100L16mfma_gemm_kernelI19rocblas_complex_numIfElPKS3_PS3_PKS6_S8_EEv18rocblas_operation_S9_T0_SA_SA_T1_T2_lSA_SA_lT3_lSA_SA_lSB_T4_lSA_SA_l.kd
    .uniform_work_group_size: 1
    .uses_dynamic_stack: false
    .vgpr_count:     51
    .vgpr_spill_count: 0
    .wavefront_size: 64
  - .agpr_count:     0
    .args:
      - .offset:         0
        .size:           4
        .value_kind:     by_value
      - .offset:         4
        .size:           4
        .value_kind:     by_value
      - .offset:         8
        .size:           8
        .value_kind:     by_value
      - .offset:         16
        .size:           8
        .value_kind:     by_value
      - .offset:         24
        .size:           8
        .value_kind:     by_value
      - .offset:         32
        .size:           8
        .value_kind:     by_value
      - .address_space:  global
        .offset:         40
        .size:           8
        .value_kind:     global_buffer
      - .offset:         48
        .size:           8
        .value_kind:     by_value
      - .offset:         56
        .size:           8
        .value_kind:     by_value
      - .offset:         64
        .size:           8
        .value_kind:     by_value
      - .offset:         72
        .size:           8
        .value_kind:     by_value
      - .address_space:  global
        .offset:         80
        .size:           8
        .value_kind:     global_buffer
      - .offset:         88
        .size:           8
        .value_kind:     by_value
      - .offset:         96
        .size:           8
        .value_kind:     by_value
      - .offset:         104
        .size:           8
        .value_kind:     by_value
      - .offset:         112
        .size:           8
        .value_kind:     by_value
      - .offset:         120
        .size:           8
        .value_kind:     by_value
      - .address_space:  global
        .offset:         128
        .size:           8
        .value_kind:     global_buffer
      - .offset:         136
        .size:           8
        .value_kind:     by_value
      - .offset:         144
        .size:           8
        .value_kind:     by_value
      - .offset:         152
        .size:           8
        .value_kind:     by_value
      - .offset:         160
        .size:           8
        .value_kind:     by_value
      - .offset:         168
        .size:           4
        .value_kind:     hidden_block_count_x
      - .offset:         172
        .size:           4
        .value_kind:     hidden_block_count_y
      - .offset:         176
        .size:           4
        .value_kind:     hidden_block_count_z
      - .offset:         180
        .size:           2
        .value_kind:     hidden_group_size_x
      - .offset:         182
        .size:           2
        .value_kind:     hidden_group_size_y
      - .offset:         184
        .size:           2
        .value_kind:     hidden_group_size_z
      - .offset:         186
        .size:           2
        .value_kind:     hidden_remainder_x
      - .offset:         188
        .size:           2
        .value_kind:     hidden_remainder_y
      - .offset:         190
        .size:           2
        .value_kind:     hidden_remainder_z
      - .offset:         208
        .size:           8
        .value_kind:     hidden_global_offset_x
      - .offset:         216
        .size:           8
        .value_kind:     hidden_global_offset_y
      - .offset:         224
        .size:           8
        .value_kind:     hidden_global_offset_z
      - .offset:         232
        .size:           2
        .value_kind:     hidden_grid_dims
    .group_segment_fixed_size: 20480
    .kernarg_segment_align: 8
    .kernarg_segment_size: 424
    .language:       OpenCL C
    .language_version:
      - 2
      - 0
    .max_flat_workgroup_size: 1024
    .name:           _ZN9rocsolver6v33100L16mfma_gemm_kernelI19rocblas_complex_numIfElS3_PS3_PKS4_S6_EEv18rocblas_operation_S7_T0_S8_S8_T1_T2_lS8_S8_lT3_lS8_S8_lS9_T4_lS8_S8_l
    .private_segment_fixed_size: 0
    .sgpr_count:     59
    .sgpr_spill_count: 0
    .symbol:         _ZN9rocsolver6v33100L16mfma_gemm_kernelI19rocblas_complex_numIfElS3_PS3_PKS4_S6_EEv18rocblas_operation_S7_T0_S8_S8_T1_T2_lS8_S8_lT3_lS8_S8_lS9_T4_lS8_S8_l.kd
    .uniform_work_group_size: 1
    .uses_dynamic_stack: false
    .vgpr_count:     51
    .vgpr_spill_count: 0
    .wavefront_size: 64
  - .agpr_count:     0
    .args:
      - .offset:         0
        .size:           8
        .value_kind:     by_value
      - .offset:         8
        .size:           8
        .value_kind:     by_value
      - .offset:         16
        .size:           8
        .value_kind:     by_value
      - .address_space:  global
        .offset:         24
        .size:           8
        .value_kind:     global_buffer
      - .offset:         32
        .size:           1
        .value_kind:     by_value
      - .address_space:  global
        .offset:         40
        .size:           8
        .value_kind:     global_buffer
      - .offset:         48
        .size:           8
        .value_kind:     by_value
      - .offset:         56
        .size:           8
        .value_kind:     by_value
      - .offset:         64
        .size:           8
        .value_kind:     by_value
      - .offset:         72
        .size:           8
        .value_kind:     by_value
      - .offset:         80
        .size:           1
        .value_kind:     by_value
      - .address_space:  global
        .offset:         88
        .size:           8
        .value_kind:     global_buffer
      - .offset:         96
        .size:           8
        .value_kind:     by_value
      - .offset:         104
        .size:           8
        .value_kind:     by_value
      - .offset:         112
        .size:           8
        .value_kind:     by_value
      - .offset:         120
        .size:           8
        .value_kind:     by_value
      - .address_space:  global
        .offset:         128
        .size:           8
        .value_kind:     global_buffer
      - .address_space:  global
        .offset:         136
        .size:           8
        .value_kind:     global_buffer
      - .offset:         144
        .size:           8
        .value_kind:     by_value
      - .offset:         152
        .size:           8
        .value_kind:     by_value
      - .offset:         160
        .size:           8
        .value_kind:     by_value
      - .offset:         168
        .size:           8
        .value_kind:     by_value
      - .offset:         176
        .size:           4
        .value_kind:     hidden_block_count_x
      - .offset:         180
        .size:           4
        .value_kind:     hidden_block_count_y
      - .offset:         184
        .size:           4
        .value_kind:     hidden_block_count_z
      - .offset:         188
        .size:           2
        .value_kind:     hidden_group_size_x
      - .offset:         190
        .size:           2
        .value_kind:     hidden_group_size_y
      - .offset:         192
        .size:           2
        .value_kind:     hidden_group_size_z
      - .offset:         194
        .size:           2
        .value_kind:     hidden_remainder_x
      - .offset:         196
        .size:           2
        .value_kind:     hidden_remainder_y
      - .offset:         198
        .size:           2
        .value_kind:     hidden_remainder_z
      - .offset:         216
        .size:           8
        .value_kind:     hidden_global_offset_x
      - .offset:         224
        .size:           8
        .value_kind:     hidden_global_offset_y
      - .offset:         232
        .size:           8
        .value_kind:     hidden_global_offset_z
      - .offset:         240
        .size:           2
        .value_kind:     hidden_grid_dims
    .group_segment_fixed_size: 0
    .kernarg_segment_align: 8
    .kernarg_segment_size: 432
    .language:       OpenCL C
    .language_version:
      - 2
      - 0
    .max_flat_workgroup_size: 1024
    .name:           _ZN9rocsolver6v33100L11gemm_kernelI19rocblas_complex_numIfElPKS3_PS3_PKS6_S8_EEvT0_S9_S9_T1_bT2_lS9_S9_lbT3_lS9_S9_lSA_T4_lS9_S9_l
    .private_segment_fixed_size: 0
    .sgpr_count:     56
    .sgpr_spill_count: 0
    .symbol:         _ZN9rocsolver6v33100L11gemm_kernelI19rocblas_complex_numIfElPKS3_PS3_PKS6_S8_EEvT0_S9_S9_T1_bT2_lS9_S9_lbT3_lS9_S9_lSA_T4_lS9_S9_l.kd
    .uniform_work_group_size: 1
    .uses_dynamic_stack: false
    .vgpr_count:     17
    .vgpr_spill_count: 0
    .wavefront_size: 64
  - .agpr_count:     0
    .args:
      - .offset:         0
        .size:           8
        .value_kind:     by_value
      - .offset:         8
        .size:           8
        .value_kind:     by_value
      - .offset:         16
        .size:           8
        .value_kind:     by_value
      - .offset:         24
        .size:           8
        .value_kind:     by_value
      - .offset:         32
        .size:           1
        .value_kind:     by_value
      - .address_space:  global
        .offset:         40
        .size:           8
        .value_kind:     global_buffer
      - .offset:         48
        .size:           8
        .value_kind:     by_value
      - .offset:         56
        .size:           8
        .value_kind:     by_value
      - .offset:         64
        .size:           8
        .value_kind:     by_value
      - .offset:         72
        .size:           8
        .value_kind:     by_value
      - .offset:         80
        .size:           1
        .value_kind:     by_value
      - .address_space:  global
        .offset:         88
        .size:           8
        .value_kind:     global_buffer
      - .offset:         96
        .size:           8
        .value_kind:     by_value
      - .offset:         104
        .size:           8
        .value_kind:     by_value
      - .offset:         112
        .size:           8
        .value_kind:     by_value
      - .offset:         120
        .size:           8
        .value_kind:     by_value
      - .offset:         128
        .size:           8
        .value_kind:     by_value
      - .address_space:  global
        .offset:         136
        .size:           8
        .value_kind:     global_buffer
      - .offset:         144
        .size:           8
        .value_kind:     by_value
      - .offset:         152
        .size:           8
        .value_kind:     by_value
      - .offset:         160
        .size:           8
        .value_kind:     by_value
      - .offset:         168
        .size:           8
        .value_kind:     by_value
      - .offset:         176
        .size:           4
        .value_kind:     hidden_block_count_x
      - .offset:         180
        .size:           4
        .value_kind:     hidden_block_count_y
      - .offset:         184
        .size:           4
        .value_kind:     hidden_block_count_z
      - .offset:         188
        .size:           2
        .value_kind:     hidden_group_size_x
      - .offset:         190
        .size:           2
        .value_kind:     hidden_group_size_y
      - .offset:         192
        .size:           2
        .value_kind:     hidden_group_size_z
      - .offset:         194
        .size:           2
        .value_kind:     hidden_remainder_x
      - .offset:         196
        .size:           2
        .value_kind:     hidden_remainder_y
      - .offset:         198
        .size:           2
        .value_kind:     hidden_remainder_z
      - .offset:         216
        .size:           8
        .value_kind:     hidden_global_offset_x
      - .offset:         224
        .size:           8
        .value_kind:     hidden_global_offset_y
      - .offset:         232
        .size:           8
        .value_kind:     hidden_global_offset_z
      - .offset:         240
        .size:           2
        .value_kind:     hidden_grid_dims
    .group_segment_fixed_size: 0
    .kernarg_segment_align: 8
    .kernarg_segment_size: 432
    .language:       OpenCL C
    .language_version:
      - 2
      - 0
    .max_flat_workgroup_size: 1024
    .name:           _ZN9rocsolver6v33100L11gemm_kernelI19rocblas_complex_numIfElS3_PS3_PKS4_S6_EEvT0_S7_S7_T1_bT2_lS7_S7_lbT3_lS7_S7_lS8_T4_lS7_S7_l
    .private_segment_fixed_size: 0
    .sgpr_count:     48
    .sgpr_spill_count: 0
    .symbol:         _ZN9rocsolver6v33100L11gemm_kernelI19rocblas_complex_numIfElS3_PS3_PKS4_S6_EEvT0_S7_S7_T1_bT2_lS7_S7_lbT3_lS7_S7_lS8_T4_lS7_S7_l.kd
    .uniform_work_group_size: 1
    .uses_dynamic_stack: false
    .vgpr_count:     17
    .vgpr_spill_count: 0
    .wavefront_size: 64
  - .agpr_count:     0
    .args:
      - .offset:         0
        .size:           4
        .value_kind:     by_value
      - .offset:         4
        .size:           4
        .value_kind:     by_value
      - .offset:         8
        .size:           8
        .value_kind:     by_value
      - .offset:         16
        .size:           8
        .value_kind:     by_value
      - .offset:         24
        .size:           8
        .value_kind:     by_value
      - .address_space:  global
        .offset:         32
        .size:           8
        .value_kind:     global_buffer
      - .address_space:  global
        .offset:         40
        .size:           8
        .value_kind:     global_buffer
      - .offset:         48
        .size:           8
        .value_kind:     by_value
      - .offset:         56
        .size:           8
        .value_kind:     by_value
      - .offset:         64
        .size:           8
        .value_kind:     by_value
      - .offset:         72
        .size:           8
        .value_kind:     by_value
      - .address_space:  global
        .offset:         80
        .size:           8
        .value_kind:     global_buffer
      - .offset:         88
        .size:           8
        .value_kind:     by_value
      - .offset:         96
        .size:           8
        .value_kind:     by_value
      - .offset:         104
        .size:           8
        .value_kind:     by_value
      - .offset:         112
        .size:           8
        .value_kind:     by_value
      - .address_space:  global
        .offset:         120
        .size:           8
        .value_kind:     global_buffer
      - .address_space:  global
        .offset:         128
        .size:           8
        .value_kind:     global_buffer
      - .offset:         136
        .size:           8
        .value_kind:     by_value
      - .offset:         144
        .size:           8
        .value_kind:     by_value
      - .offset:         152
        .size:           8
        .value_kind:     by_value
      - .offset:         160
        .size:           8
        .value_kind:     by_value
      - .offset:         168
        .size:           4
        .value_kind:     hidden_block_count_x
      - .offset:         172
        .size:           4
        .value_kind:     hidden_block_count_y
      - .offset:         176
        .size:           4
        .value_kind:     hidden_block_count_z
      - .offset:         180
        .size:           2
        .value_kind:     hidden_group_size_x
      - .offset:         182
        .size:           2
        .value_kind:     hidden_group_size_y
      - .offset:         184
        .size:           2
        .value_kind:     hidden_group_size_z
      - .offset:         186
        .size:           2
        .value_kind:     hidden_remainder_x
      - .offset:         188
        .size:           2
        .value_kind:     hidden_remainder_y
      - .offset:         190
        .size:           2
        .value_kind:     hidden_remainder_z
      - .offset:         208
        .size:           8
        .value_kind:     hidden_global_offset_x
      - .offset:         216
        .size:           8
        .value_kind:     hidden_global_offset_y
      - .offset:         224
        .size:           8
        .value_kind:     hidden_global_offset_z
      - .offset:         232
        .size:           2
        .value_kind:     hidden_grid_dims
    .group_segment_fixed_size: 20480
    .kernarg_segment_align: 8
    .kernarg_segment_size: 424
    .language:       OpenCL C
    .language_version:
      - 2
      - 0
    .max_flat_workgroup_size: 1024
    .name:           _ZN9rocsolver6v33100L16mfma_gemm_kernelI19rocblas_complex_numIfElPKS3_PKPS3_S6_S8_EEv18rocblas_operation_S9_T0_SA_SA_T1_T2_lSA_SA_lT3_lSA_SA_lSB_T4_lSA_SA_l
    .private_segment_fixed_size: 0
    .sgpr_count:     56
    .sgpr_spill_count: 0
    .symbol:         _ZN9rocsolver6v33100L16mfma_gemm_kernelI19rocblas_complex_numIfElPKS3_PKPS3_S6_S8_EEv18rocblas_operation_S9_T0_SA_SA_T1_T2_lSA_SA_lT3_lSA_SA_lSB_T4_lSA_SA_l.kd
    .uniform_work_group_size: 1
    .uses_dynamic_stack: false
    .vgpr_count:     51
    .vgpr_spill_count: 0
    .wavefront_size: 64
  - .agpr_count:     0
    .args:
      - .offset:         0
        .size:           4
        .value_kind:     by_value
      - .offset:         4
        .size:           4
        .value_kind:     by_value
      - .offset:         8
        .size:           8
        .value_kind:     by_value
      - .offset:         16
        .size:           8
        .value_kind:     by_value
      - .offset:         24
        .size:           8
        .value_kind:     by_value
      - .offset:         32
        .size:           8
        .value_kind:     by_value
      - .address_space:  global
        .offset:         40
        .size:           8
        .value_kind:     global_buffer
      - .offset:         48
        .size:           8
        .value_kind:     by_value
      - .offset:         56
        .size:           8
        .value_kind:     by_value
      - .offset:         64
        .size:           8
        .value_kind:     by_value
      - .offset:         72
        .size:           8
        .value_kind:     by_value
      - .address_space:  global
        .offset:         80
        .size:           8
        .value_kind:     global_buffer
      - .offset:         88
        .size:           8
        .value_kind:     by_value
      - .offset:         96
        .size:           8
        .value_kind:     by_value
      - .offset:         104
        .size:           8
        .value_kind:     by_value
      - .offset:         112
        .size:           8
        .value_kind:     by_value
      - .offset:         120
        .size:           8
        .value_kind:     by_value
      - .address_space:  global
        .offset:         128
        .size:           8
        .value_kind:     global_buffer
      - .offset:         136
        .size:           8
        .value_kind:     by_value
      - .offset:         144
        .size:           8
        .value_kind:     by_value
      - .offset:         152
        .size:           8
        .value_kind:     by_value
      - .offset:         160
        .size:           8
        .value_kind:     by_value
      - .offset:         168
        .size:           4
        .value_kind:     hidden_block_count_x
      - .offset:         172
        .size:           4
        .value_kind:     hidden_block_count_y
      - .offset:         176
        .size:           4
        .value_kind:     hidden_block_count_z
      - .offset:         180
        .size:           2
        .value_kind:     hidden_group_size_x
      - .offset:         182
        .size:           2
        .value_kind:     hidden_group_size_y
      - .offset:         184
        .size:           2
        .value_kind:     hidden_group_size_z
      - .offset:         186
        .size:           2
        .value_kind:     hidden_remainder_x
      - .offset:         188
        .size:           2
        .value_kind:     hidden_remainder_y
      - .offset:         190
        .size:           2
        .value_kind:     hidden_remainder_z
      - .offset:         208
        .size:           8
        .value_kind:     hidden_global_offset_x
      - .offset:         216
        .size:           8
        .value_kind:     hidden_global_offset_y
      - .offset:         224
        .size:           8
        .value_kind:     hidden_global_offset_z
      - .offset:         232
        .size:           2
        .value_kind:     hidden_grid_dims
    .group_segment_fixed_size: 20480
    .kernarg_segment_align: 8
    .kernarg_segment_size: 424
    .language:       OpenCL C
    .language_version:
      - 2
      - 0
    .max_flat_workgroup_size: 1024
    .name:           _ZN9rocsolver6v33100L16mfma_gemm_kernelI19rocblas_complex_numIfElS3_PKPS3_S4_S6_EEv18rocblas_operation_S7_T0_S8_S8_T1_T2_lS8_S8_lT3_lS8_S8_lS9_T4_lS8_S8_l
    .private_segment_fixed_size: 0
    .sgpr_count:     58
    .sgpr_spill_count: 0
    .symbol:         _ZN9rocsolver6v33100L16mfma_gemm_kernelI19rocblas_complex_numIfElS3_PKPS3_S4_S6_EEv18rocblas_operation_S7_T0_S8_S8_T1_T2_lS8_S8_lT3_lS8_S8_lS9_T4_lS8_S8_l.kd
    .uniform_work_group_size: 1
    .uses_dynamic_stack: false
    .vgpr_count:     51
    .vgpr_spill_count: 0
    .wavefront_size: 64
  - .agpr_count:     0
    .args:
      - .offset:         0
        .size:           8
        .value_kind:     by_value
      - .offset:         8
        .size:           8
        .value_kind:     by_value
      - .offset:         16
        .size:           8
        .value_kind:     by_value
      - .address_space:  global
        .offset:         24
        .size:           8
        .value_kind:     global_buffer
      - .offset:         32
        .size:           1
        .value_kind:     by_value
      - .address_space:  global
        .offset:         40
        .size:           8
        .value_kind:     global_buffer
      - .offset:         48
        .size:           8
        .value_kind:     by_value
      - .offset:         56
        .size:           8
        .value_kind:     by_value
      - .offset:         64
        .size:           8
        .value_kind:     by_value
      - .offset:         72
        .size:           8
        .value_kind:     by_value
      - .offset:         80
        .size:           1
        .value_kind:     by_value
      - .address_space:  global
        .offset:         88
        .size:           8
        .value_kind:     global_buffer
      - .offset:         96
        .size:           8
        .value_kind:     by_value
      - .offset:         104
        .size:           8
        .value_kind:     by_value
      - .offset:         112
        .size:           8
        .value_kind:     by_value
      - .offset:         120
        .size:           8
        .value_kind:     by_value
      - .address_space:  global
        .offset:         128
        .size:           8
        .value_kind:     global_buffer
      - .address_space:  global
        .offset:         136
        .size:           8
        .value_kind:     global_buffer
      - .offset:         144
        .size:           8
        .value_kind:     by_value
      - .offset:         152
        .size:           8
        .value_kind:     by_value
      - .offset:         160
        .size:           8
        .value_kind:     by_value
      - .offset:         168
        .size:           8
        .value_kind:     by_value
      - .offset:         176
        .size:           4
        .value_kind:     hidden_block_count_x
      - .offset:         180
        .size:           4
        .value_kind:     hidden_block_count_y
      - .offset:         184
        .size:           4
        .value_kind:     hidden_block_count_z
      - .offset:         188
        .size:           2
        .value_kind:     hidden_group_size_x
      - .offset:         190
        .size:           2
        .value_kind:     hidden_group_size_y
      - .offset:         192
        .size:           2
        .value_kind:     hidden_group_size_z
      - .offset:         194
        .size:           2
        .value_kind:     hidden_remainder_x
      - .offset:         196
        .size:           2
        .value_kind:     hidden_remainder_y
      - .offset:         198
        .size:           2
        .value_kind:     hidden_remainder_z
      - .offset:         216
        .size:           8
        .value_kind:     hidden_global_offset_x
      - .offset:         224
        .size:           8
        .value_kind:     hidden_global_offset_y
      - .offset:         232
        .size:           8
        .value_kind:     hidden_global_offset_z
      - .offset:         240
        .size:           2
        .value_kind:     hidden_grid_dims
    .group_segment_fixed_size: 0
    .kernarg_segment_align: 8
    .kernarg_segment_size: 432
    .language:       OpenCL C
    .language_version:
      - 2
      - 0
    .max_flat_workgroup_size: 1024
    .name:           _ZN9rocsolver6v33100L11gemm_kernelI19rocblas_complex_numIfElPKS3_PKPS3_S6_S8_EEvT0_S9_S9_T1_bT2_lS9_S9_lbT3_lS9_S9_lSA_T4_lS9_S9_l
    .private_segment_fixed_size: 0
    .sgpr_count:     48
    .sgpr_spill_count: 0
    .symbol:         _ZN9rocsolver6v33100L11gemm_kernelI19rocblas_complex_numIfElPKS3_PKPS3_S6_S8_EEvT0_S9_S9_T1_bT2_lS9_S9_lbT3_lS9_S9_lSA_T4_lS9_S9_l.kd
    .uniform_work_group_size: 1
    .uses_dynamic_stack: false
    .vgpr_count:     17
    .vgpr_spill_count: 0
    .wavefront_size: 64
  - .agpr_count:     0
    .args:
      - .offset:         0
        .size:           8
        .value_kind:     by_value
      - .offset:         8
        .size:           8
        .value_kind:     by_value
      - .offset:         16
        .size:           8
        .value_kind:     by_value
      - .offset:         24
        .size:           8
        .value_kind:     by_value
      - .offset:         32
        .size:           1
        .value_kind:     by_value
      - .address_space:  global
        .offset:         40
        .size:           8
        .value_kind:     global_buffer
      - .offset:         48
        .size:           8
        .value_kind:     by_value
      - .offset:         56
        .size:           8
        .value_kind:     by_value
      - .offset:         64
        .size:           8
        .value_kind:     by_value
      - .offset:         72
        .size:           8
        .value_kind:     by_value
      - .offset:         80
        .size:           1
        .value_kind:     by_value
      - .address_space:  global
        .offset:         88
        .size:           8
        .value_kind:     global_buffer
      - .offset:         96
        .size:           8
        .value_kind:     by_value
      - .offset:         104
        .size:           8
        .value_kind:     by_value
      - .offset:         112
        .size:           8
        .value_kind:     by_value
      - .offset:         120
        .size:           8
        .value_kind:     by_value
      - .offset:         128
        .size:           8
        .value_kind:     by_value
      - .address_space:  global
        .offset:         136
        .size:           8
        .value_kind:     global_buffer
      - .offset:         144
        .size:           8
        .value_kind:     by_value
      - .offset:         152
        .size:           8
        .value_kind:     by_value
      - .offset:         160
        .size:           8
        .value_kind:     by_value
      - .offset:         168
        .size:           8
        .value_kind:     by_value
      - .offset:         176
        .size:           4
        .value_kind:     hidden_block_count_x
      - .offset:         180
        .size:           4
        .value_kind:     hidden_block_count_y
      - .offset:         184
        .size:           4
        .value_kind:     hidden_block_count_z
      - .offset:         188
        .size:           2
        .value_kind:     hidden_group_size_x
      - .offset:         190
        .size:           2
        .value_kind:     hidden_group_size_y
      - .offset:         192
        .size:           2
        .value_kind:     hidden_group_size_z
      - .offset:         194
        .size:           2
        .value_kind:     hidden_remainder_x
      - .offset:         196
        .size:           2
        .value_kind:     hidden_remainder_y
      - .offset:         198
        .size:           2
        .value_kind:     hidden_remainder_z
      - .offset:         216
        .size:           8
        .value_kind:     hidden_global_offset_x
      - .offset:         224
        .size:           8
        .value_kind:     hidden_global_offset_y
      - .offset:         232
        .size:           8
        .value_kind:     hidden_global_offset_z
      - .offset:         240
        .size:           2
        .value_kind:     hidden_grid_dims
    .group_segment_fixed_size: 0
    .kernarg_segment_align: 8
    .kernarg_segment_size: 432
    .language:       OpenCL C
    .language_version:
      - 2
      - 0
    .max_flat_workgroup_size: 1024
    .name:           _ZN9rocsolver6v33100L11gemm_kernelI19rocblas_complex_numIfElS3_PKPS3_S4_S6_EEvT0_S7_S7_T1_bT2_lS7_S7_lbT3_lS7_S7_lS8_T4_lS7_S7_l
    .private_segment_fixed_size: 0
    .sgpr_count:     48
    .sgpr_spill_count: 0
    .symbol:         _ZN9rocsolver6v33100L11gemm_kernelI19rocblas_complex_numIfElS3_PKPS3_S4_S6_EEvT0_S7_S7_T1_bT2_lS7_S7_lbT3_lS7_S7_lS8_T4_lS7_S7_l.kd
    .uniform_work_group_size: 1
    .uses_dynamic_stack: false
    .vgpr_count:     17
    .vgpr_spill_count: 0
    .wavefront_size: 64
  - .agpr_count:     0
    .args:
      - .offset:         0
        .size:           4
        .value_kind:     by_value
      - .offset:         4
        .size:           4
        .value_kind:     by_value
      - .offset:         8
        .size:           8
        .value_kind:     by_value
      - .offset:         16
        .size:           8
        .value_kind:     by_value
      - .offset:         24
        .size:           8
        .value_kind:     by_value
      - .address_space:  global
        .offset:         32
        .size:           8
        .value_kind:     global_buffer
      - .address_space:  global
        .offset:         40
        .size:           8
        .value_kind:     global_buffer
      - .offset:         48
        .size:           8
        .value_kind:     by_value
      - .offset:         56
        .size:           8
        .value_kind:     by_value
      - .offset:         64
        .size:           8
        .value_kind:     by_value
      - .offset:         72
        .size:           8
        .value_kind:     by_value
      - .address_space:  global
        .offset:         80
        .size:           8
        .value_kind:     global_buffer
      - .offset:         88
        .size:           8
        .value_kind:     by_value
      - .offset:         96
        .size:           8
        .value_kind:     by_value
      - .offset:         104
        .size:           8
        .value_kind:     by_value
      - .offset:         112
        .size:           8
        .value_kind:     by_value
      - .address_space:  global
        .offset:         120
        .size:           8
        .value_kind:     global_buffer
      - .address_space:  global
        .offset:         128
        .size:           8
        .value_kind:     global_buffer
      - .offset:         136
        .size:           8
        .value_kind:     by_value
      - .offset:         144
        .size:           8
        .value_kind:     by_value
      - .offset:         152
        .size:           8
        .value_kind:     by_value
      - .offset:         160
        .size:           8
        .value_kind:     by_value
      - .offset:         168
        .size:           4
        .value_kind:     hidden_block_count_x
      - .offset:         172
        .size:           4
        .value_kind:     hidden_block_count_y
      - .offset:         176
        .size:           4
        .value_kind:     hidden_block_count_z
      - .offset:         180
        .size:           2
        .value_kind:     hidden_group_size_x
      - .offset:         182
        .size:           2
        .value_kind:     hidden_group_size_y
      - .offset:         184
        .size:           2
        .value_kind:     hidden_group_size_z
      - .offset:         186
        .size:           2
        .value_kind:     hidden_remainder_x
      - .offset:         188
        .size:           2
        .value_kind:     hidden_remainder_y
      - .offset:         190
        .size:           2
        .value_kind:     hidden_remainder_z
      - .offset:         208
        .size:           8
        .value_kind:     hidden_global_offset_x
      - .offset:         216
        .size:           8
        .value_kind:     hidden_global_offset_y
      - .offset:         224
        .size:           8
        .value_kind:     hidden_global_offset_z
      - .offset:         232
        .size:           2
        .value_kind:     hidden_grid_dims
    .group_segment_fixed_size: 20480
    .kernarg_segment_align: 8
    .kernarg_segment_size: 424
    .language:       OpenCL C
    .language_version:
      - 2
      - 0
    .max_flat_workgroup_size: 1024
    .name:           _ZN9rocsolver6v33100L16mfma_gemm_kernelI19rocblas_complex_numIfElPKS3_PKPS3_S8_S6_EEv18rocblas_operation_S9_T0_SA_SA_T1_T2_lSA_SA_lT3_lSA_SA_lSB_T4_lSA_SA_l
    .private_segment_fixed_size: 0
    .sgpr_count:     58
    .sgpr_spill_count: 0
    .symbol:         _ZN9rocsolver6v33100L16mfma_gemm_kernelI19rocblas_complex_numIfElPKS3_PKPS3_S8_S6_EEv18rocblas_operation_S9_T0_SA_SA_T1_T2_lSA_SA_lT3_lSA_SA_lSB_T4_lSA_SA_l.kd
    .uniform_work_group_size: 1
    .uses_dynamic_stack: false
    .vgpr_count:     51
    .vgpr_spill_count: 0
    .wavefront_size: 64
  - .agpr_count:     0
    .args:
      - .offset:         0
        .size:           4
        .value_kind:     by_value
      - .offset:         4
        .size:           4
        .value_kind:     by_value
      - .offset:         8
        .size:           8
        .value_kind:     by_value
      - .offset:         16
        .size:           8
        .value_kind:     by_value
      - .offset:         24
        .size:           8
        .value_kind:     by_value
      - .offset:         32
        .size:           8
        .value_kind:     by_value
      - .address_space:  global
        .offset:         40
        .size:           8
        .value_kind:     global_buffer
      - .offset:         48
        .size:           8
        .value_kind:     by_value
      - .offset:         56
        .size:           8
        .value_kind:     by_value
      - .offset:         64
        .size:           8
        .value_kind:     by_value
      - .offset:         72
        .size:           8
        .value_kind:     by_value
      - .address_space:  global
        .offset:         80
        .size:           8
        .value_kind:     global_buffer
      - .offset:         88
        .size:           8
        .value_kind:     by_value
      - .offset:         96
        .size:           8
        .value_kind:     by_value
      - .offset:         104
        .size:           8
        .value_kind:     by_value
      - .offset:         112
        .size:           8
        .value_kind:     by_value
      - .offset:         120
        .size:           8
        .value_kind:     by_value
      - .address_space:  global
        .offset:         128
        .size:           8
        .value_kind:     global_buffer
      - .offset:         136
        .size:           8
        .value_kind:     by_value
      - .offset:         144
        .size:           8
        .value_kind:     by_value
      - .offset:         152
        .size:           8
        .value_kind:     by_value
      - .offset:         160
        .size:           8
        .value_kind:     by_value
      - .offset:         168
        .size:           4
        .value_kind:     hidden_block_count_x
      - .offset:         172
        .size:           4
        .value_kind:     hidden_block_count_y
      - .offset:         176
        .size:           4
        .value_kind:     hidden_block_count_z
      - .offset:         180
        .size:           2
        .value_kind:     hidden_group_size_x
      - .offset:         182
        .size:           2
        .value_kind:     hidden_group_size_y
      - .offset:         184
        .size:           2
        .value_kind:     hidden_group_size_z
      - .offset:         186
        .size:           2
        .value_kind:     hidden_remainder_x
      - .offset:         188
        .size:           2
        .value_kind:     hidden_remainder_y
      - .offset:         190
        .size:           2
        .value_kind:     hidden_remainder_z
      - .offset:         208
        .size:           8
        .value_kind:     hidden_global_offset_x
      - .offset:         216
        .size:           8
        .value_kind:     hidden_global_offset_y
      - .offset:         224
        .size:           8
        .value_kind:     hidden_global_offset_z
      - .offset:         232
        .size:           2
        .value_kind:     hidden_grid_dims
    .group_segment_fixed_size: 20480
    .kernarg_segment_align: 8
    .kernarg_segment_size: 424
    .language:       OpenCL C
    .language_version:
      - 2
      - 0
    .max_flat_workgroup_size: 1024
    .name:           _ZN9rocsolver6v33100L16mfma_gemm_kernelI19rocblas_complex_numIfElS3_PKPS3_S6_S4_EEv18rocblas_operation_S7_T0_S8_S8_T1_T2_lS8_S8_lT3_lS8_S8_lS9_T4_lS8_S8_l
    .private_segment_fixed_size: 0
    .sgpr_count:     50
    .sgpr_spill_count: 0
    .symbol:         _ZN9rocsolver6v33100L16mfma_gemm_kernelI19rocblas_complex_numIfElS3_PKPS3_S6_S4_EEv18rocblas_operation_S7_T0_S8_S8_T1_T2_lS8_S8_lT3_lS8_S8_lS9_T4_lS8_S8_l.kd
    .uniform_work_group_size: 1
    .uses_dynamic_stack: false
    .vgpr_count:     51
    .vgpr_spill_count: 0
    .wavefront_size: 64
  - .agpr_count:     0
    .args:
      - .offset:         0
        .size:           8
        .value_kind:     by_value
      - .offset:         8
        .size:           8
        .value_kind:     by_value
      - .offset:         16
        .size:           8
        .value_kind:     by_value
      - .address_space:  global
        .offset:         24
        .size:           8
        .value_kind:     global_buffer
      - .offset:         32
        .size:           1
        .value_kind:     by_value
      - .address_space:  global
        .offset:         40
        .size:           8
        .value_kind:     global_buffer
      - .offset:         48
        .size:           8
        .value_kind:     by_value
      - .offset:         56
        .size:           8
        .value_kind:     by_value
      - .offset:         64
        .size:           8
        .value_kind:     by_value
      - .offset:         72
        .size:           8
        .value_kind:     by_value
      - .offset:         80
        .size:           1
        .value_kind:     by_value
      - .address_space:  global
        .offset:         88
        .size:           8
        .value_kind:     global_buffer
      - .offset:         96
        .size:           8
        .value_kind:     by_value
      - .offset:         104
        .size:           8
        .value_kind:     by_value
      - .offset:         112
        .size:           8
        .value_kind:     by_value
      - .offset:         120
        .size:           8
        .value_kind:     by_value
      - .address_space:  global
        .offset:         128
        .size:           8
        .value_kind:     global_buffer
      - .address_space:  global
        .offset:         136
        .size:           8
        .value_kind:     global_buffer
      - .offset:         144
        .size:           8
        .value_kind:     by_value
      - .offset:         152
        .size:           8
        .value_kind:     by_value
      - .offset:         160
        .size:           8
        .value_kind:     by_value
      - .offset:         168
        .size:           8
        .value_kind:     by_value
      - .offset:         176
        .size:           4
        .value_kind:     hidden_block_count_x
      - .offset:         180
        .size:           4
        .value_kind:     hidden_block_count_y
      - .offset:         184
        .size:           4
        .value_kind:     hidden_block_count_z
      - .offset:         188
        .size:           2
        .value_kind:     hidden_group_size_x
      - .offset:         190
        .size:           2
        .value_kind:     hidden_group_size_y
      - .offset:         192
        .size:           2
        .value_kind:     hidden_group_size_z
      - .offset:         194
        .size:           2
        .value_kind:     hidden_remainder_x
      - .offset:         196
        .size:           2
        .value_kind:     hidden_remainder_y
      - .offset:         198
        .size:           2
        .value_kind:     hidden_remainder_z
      - .offset:         216
        .size:           8
        .value_kind:     hidden_global_offset_x
      - .offset:         224
        .size:           8
        .value_kind:     hidden_global_offset_y
      - .offset:         232
        .size:           8
        .value_kind:     hidden_global_offset_z
      - .offset:         240
        .size:           2
        .value_kind:     hidden_grid_dims
    .group_segment_fixed_size: 0
    .kernarg_segment_align: 8
    .kernarg_segment_size: 432
    .language:       OpenCL C
    .language_version:
      - 2
      - 0
    .max_flat_workgroup_size: 1024
    .name:           _ZN9rocsolver6v33100L11gemm_kernelI19rocblas_complex_numIfElPKS3_PKPS3_S8_S6_EEvT0_S9_S9_T1_bT2_lS9_S9_lbT3_lS9_S9_lSA_T4_lS9_S9_l
    .private_segment_fixed_size: 0
    .sgpr_count:     48
    .sgpr_spill_count: 0
    .symbol:         _ZN9rocsolver6v33100L11gemm_kernelI19rocblas_complex_numIfElPKS3_PKPS3_S8_S6_EEvT0_S9_S9_T1_bT2_lS9_S9_lbT3_lS9_S9_lSA_T4_lS9_S9_l.kd
    .uniform_work_group_size: 1
    .uses_dynamic_stack: false
    .vgpr_count:     17
    .vgpr_spill_count: 0
    .wavefront_size: 64
  - .agpr_count:     0
    .args:
      - .offset:         0
        .size:           8
        .value_kind:     by_value
      - .offset:         8
        .size:           8
        .value_kind:     by_value
      - .offset:         16
        .size:           8
        .value_kind:     by_value
      - .offset:         24
        .size:           8
        .value_kind:     by_value
      - .offset:         32
        .size:           1
        .value_kind:     by_value
      - .address_space:  global
        .offset:         40
        .size:           8
        .value_kind:     global_buffer
      - .offset:         48
        .size:           8
        .value_kind:     by_value
      - .offset:         56
        .size:           8
        .value_kind:     by_value
      - .offset:         64
        .size:           8
        .value_kind:     by_value
      - .offset:         72
        .size:           8
        .value_kind:     by_value
      - .offset:         80
        .size:           1
        .value_kind:     by_value
      - .address_space:  global
        .offset:         88
        .size:           8
        .value_kind:     global_buffer
      - .offset:         96
        .size:           8
        .value_kind:     by_value
      - .offset:         104
        .size:           8
        .value_kind:     by_value
      - .offset:         112
        .size:           8
        .value_kind:     by_value
      - .offset:         120
        .size:           8
        .value_kind:     by_value
      - .offset:         128
        .size:           8
        .value_kind:     by_value
      - .address_space:  global
        .offset:         136
        .size:           8
        .value_kind:     global_buffer
      - .offset:         144
        .size:           8
        .value_kind:     by_value
      - .offset:         152
        .size:           8
        .value_kind:     by_value
      - .offset:         160
        .size:           8
        .value_kind:     by_value
      - .offset:         168
        .size:           8
        .value_kind:     by_value
      - .offset:         176
        .size:           4
        .value_kind:     hidden_block_count_x
      - .offset:         180
        .size:           4
        .value_kind:     hidden_block_count_y
      - .offset:         184
        .size:           4
        .value_kind:     hidden_block_count_z
      - .offset:         188
        .size:           2
        .value_kind:     hidden_group_size_x
      - .offset:         190
        .size:           2
        .value_kind:     hidden_group_size_y
      - .offset:         192
        .size:           2
        .value_kind:     hidden_group_size_z
      - .offset:         194
        .size:           2
        .value_kind:     hidden_remainder_x
      - .offset:         196
        .size:           2
        .value_kind:     hidden_remainder_y
      - .offset:         198
        .size:           2
        .value_kind:     hidden_remainder_z
      - .offset:         216
        .size:           8
        .value_kind:     hidden_global_offset_x
      - .offset:         224
        .size:           8
        .value_kind:     hidden_global_offset_y
      - .offset:         232
        .size:           8
        .value_kind:     hidden_global_offset_z
      - .offset:         240
        .size:           2
        .value_kind:     hidden_grid_dims
    .group_segment_fixed_size: 0
    .kernarg_segment_align: 8
    .kernarg_segment_size: 432
    .language:       OpenCL C
    .language_version:
      - 2
      - 0
    .max_flat_workgroup_size: 1024
    .name:           _ZN9rocsolver6v33100L11gemm_kernelI19rocblas_complex_numIfElS3_PKPS3_S6_S4_EEvT0_S7_S7_T1_bT2_lS7_S7_lbT3_lS7_S7_lS8_T4_lS7_S7_l
    .private_segment_fixed_size: 0
    .sgpr_count:     35
    .sgpr_spill_count: 0
    .symbol:         _ZN9rocsolver6v33100L11gemm_kernelI19rocblas_complex_numIfElS3_PKPS3_S6_S4_EEvT0_S7_S7_T1_bT2_lS7_S7_lbT3_lS7_S7_lS8_T4_lS7_S7_l.kd
    .uniform_work_group_size: 1
    .uses_dynamic_stack: false
    .vgpr_count:     17
    .vgpr_spill_count: 0
    .wavefront_size: 64
  - .agpr_count:     0
    .args:
      - .offset:         0
        .size:           4
        .value_kind:     by_value
      - .offset:         4
        .size:           4
        .value_kind:     by_value
      - .offset:         8
        .size:           8
        .value_kind:     by_value
      - .offset:         16
        .size:           8
        .value_kind:     by_value
      - .offset:         24
        .size:           8
        .value_kind:     by_value
      - .address_space:  global
        .offset:         32
        .size:           8
        .value_kind:     global_buffer
      - .address_space:  global
        .offset:         40
        .size:           8
        .value_kind:     global_buffer
      - .offset:         48
        .size:           8
        .value_kind:     by_value
      - .offset:         56
        .size:           8
        .value_kind:     by_value
      - .offset:         64
        .size:           8
        .value_kind:     by_value
      - .offset:         72
        .size:           8
        .value_kind:     by_value
      - .address_space:  global
        .offset:         80
        .size:           8
        .value_kind:     global_buffer
      - .offset:         88
        .size:           8
        .value_kind:     by_value
      - .offset:         96
        .size:           8
        .value_kind:     by_value
      - .offset:         104
        .size:           8
        .value_kind:     by_value
      - .offset:         112
        .size:           8
        .value_kind:     by_value
      - .address_space:  global
        .offset:         120
        .size:           8
        .value_kind:     global_buffer
      - .address_space:  global
        .offset:         128
        .size:           8
        .value_kind:     global_buffer
      - .offset:         136
        .size:           8
        .value_kind:     by_value
      - .offset:         144
        .size:           8
        .value_kind:     by_value
      - .offset:         152
        .size:           8
        .value_kind:     by_value
      - .offset:         160
        .size:           8
        .value_kind:     by_value
      - .offset:         168
        .size:           4
        .value_kind:     hidden_block_count_x
      - .offset:         172
        .size:           4
        .value_kind:     hidden_block_count_y
      - .offset:         176
        .size:           4
        .value_kind:     hidden_block_count_z
      - .offset:         180
        .size:           2
        .value_kind:     hidden_group_size_x
      - .offset:         182
        .size:           2
        .value_kind:     hidden_group_size_y
      - .offset:         184
        .size:           2
        .value_kind:     hidden_group_size_z
      - .offset:         186
        .size:           2
        .value_kind:     hidden_remainder_x
      - .offset:         188
        .size:           2
        .value_kind:     hidden_remainder_y
      - .offset:         190
        .size:           2
        .value_kind:     hidden_remainder_z
      - .offset:         208
        .size:           8
        .value_kind:     hidden_global_offset_x
      - .offset:         216
        .size:           8
        .value_kind:     hidden_global_offset_y
      - .offset:         224
        .size:           8
        .value_kind:     hidden_global_offset_z
      - .offset:         232
        .size:           2
        .value_kind:     hidden_grid_dims
    .group_segment_fixed_size: 20480
    .kernarg_segment_align: 8
    .kernarg_segment_size: 424
    .language:       OpenCL C
    .language_version:
      - 2
      - 0
    .max_flat_workgroup_size: 1024
    .name:           _ZN9rocsolver6v33100L16mfma_gemm_kernelI19rocblas_complex_numIfElPKS3_PKPS3_S6_S6_EEv18rocblas_operation_S9_T0_SA_SA_T1_T2_lSA_SA_lT3_lSA_SA_lSB_T4_lSA_SA_l
    .private_segment_fixed_size: 0
    .sgpr_count:     56
    .sgpr_spill_count: 0
    .symbol:         _ZN9rocsolver6v33100L16mfma_gemm_kernelI19rocblas_complex_numIfElPKS3_PKPS3_S6_S6_EEv18rocblas_operation_S9_T0_SA_SA_T1_T2_lSA_SA_lT3_lSA_SA_lSB_T4_lSA_SA_l.kd
    .uniform_work_group_size: 1
    .uses_dynamic_stack: false
    .vgpr_count:     51
    .vgpr_spill_count: 0
    .wavefront_size: 64
  - .agpr_count:     0
    .args:
      - .offset:         0
        .size:           4
        .value_kind:     by_value
      - .offset:         4
        .size:           4
        .value_kind:     by_value
      - .offset:         8
        .size:           8
        .value_kind:     by_value
      - .offset:         16
        .size:           8
        .value_kind:     by_value
      - .offset:         24
        .size:           8
        .value_kind:     by_value
      - .offset:         32
        .size:           8
        .value_kind:     by_value
      - .address_space:  global
        .offset:         40
        .size:           8
        .value_kind:     global_buffer
      - .offset:         48
        .size:           8
        .value_kind:     by_value
      - .offset:         56
        .size:           8
        .value_kind:     by_value
      - .offset:         64
        .size:           8
        .value_kind:     by_value
      - .offset:         72
        .size:           8
        .value_kind:     by_value
      - .address_space:  global
        .offset:         80
        .size:           8
        .value_kind:     global_buffer
      - .offset:         88
        .size:           8
        .value_kind:     by_value
      - .offset:         96
        .size:           8
        .value_kind:     by_value
      - .offset:         104
        .size:           8
        .value_kind:     by_value
      - .offset:         112
        .size:           8
        .value_kind:     by_value
      - .offset:         120
        .size:           8
        .value_kind:     by_value
      - .address_space:  global
        .offset:         128
        .size:           8
        .value_kind:     global_buffer
      - .offset:         136
        .size:           8
        .value_kind:     by_value
      - .offset:         144
        .size:           8
        .value_kind:     by_value
      - .offset:         152
        .size:           8
        .value_kind:     by_value
      - .offset:         160
        .size:           8
        .value_kind:     by_value
      - .offset:         168
        .size:           4
        .value_kind:     hidden_block_count_x
      - .offset:         172
        .size:           4
        .value_kind:     hidden_block_count_y
      - .offset:         176
        .size:           4
        .value_kind:     hidden_block_count_z
      - .offset:         180
        .size:           2
        .value_kind:     hidden_group_size_x
      - .offset:         182
        .size:           2
        .value_kind:     hidden_group_size_y
      - .offset:         184
        .size:           2
        .value_kind:     hidden_group_size_z
      - .offset:         186
        .size:           2
        .value_kind:     hidden_remainder_x
      - .offset:         188
        .size:           2
        .value_kind:     hidden_remainder_y
      - .offset:         190
        .size:           2
        .value_kind:     hidden_remainder_z
      - .offset:         208
        .size:           8
        .value_kind:     hidden_global_offset_x
      - .offset:         216
        .size:           8
        .value_kind:     hidden_global_offset_y
      - .offset:         224
        .size:           8
        .value_kind:     hidden_global_offset_z
      - .offset:         232
        .size:           2
        .value_kind:     hidden_grid_dims
    .group_segment_fixed_size: 20480
    .kernarg_segment_align: 8
    .kernarg_segment_size: 424
    .language:       OpenCL C
    .language_version:
      - 2
      - 0
    .max_flat_workgroup_size: 1024
    .name:           _ZN9rocsolver6v33100L16mfma_gemm_kernelI19rocblas_complex_numIfElS3_PKPS3_S4_S4_EEv18rocblas_operation_S7_T0_S8_S8_T1_T2_lS8_S8_lT3_lS8_S8_lS9_T4_lS8_S8_l
    .private_segment_fixed_size: 0
    .sgpr_count:     52
    .sgpr_spill_count: 0
    .symbol:         _ZN9rocsolver6v33100L16mfma_gemm_kernelI19rocblas_complex_numIfElS3_PKPS3_S4_S4_EEv18rocblas_operation_S7_T0_S8_S8_T1_T2_lS8_S8_lT3_lS8_S8_lS9_T4_lS8_S8_l.kd
    .uniform_work_group_size: 1
    .uses_dynamic_stack: false
    .vgpr_count:     51
    .vgpr_spill_count: 0
    .wavefront_size: 64
  - .agpr_count:     0
    .args:
      - .offset:         0
        .size:           8
        .value_kind:     by_value
      - .offset:         8
        .size:           8
        .value_kind:     by_value
      - .offset:         16
        .size:           8
        .value_kind:     by_value
      - .address_space:  global
        .offset:         24
        .size:           8
        .value_kind:     global_buffer
      - .offset:         32
        .size:           1
        .value_kind:     by_value
      - .address_space:  global
        .offset:         40
        .size:           8
        .value_kind:     global_buffer
      - .offset:         48
        .size:           8
        .value_kind:     by_value
      - .offset:         56
        .size:           8
        .value_kind:     by_value
      - .offset:         64
        .size:           8
        .value_kind:     by_value
      - .offset:         72
        .size:           8
        .value_kind:     by_value
      - .offset:         80
        .size:           1
        .value_kind:     by_value
      - .address_space:  global
        .offset:         88
        .size:           8
        .value_kind:     global_buffer
      - .offset:         96
        .size:           8
        .value_kind:     by_value
      - .offset:         104
        .size:           8
        .value_kind:     by_value
      - .offset:         112
        .size:           8
        .value_kind:     by_value
      - .offset:         120
        .size:           8
        .value_kind:     by_value
      - .address_space:  global
        .offset:         128
        .size:           8
        .value_kind:     global_buffer
      - .address_space:  global
        .offset:         136
        .size:           8
        .value_kind:     global_buffer
      - .offset:         144
        .size:           8
        .value_kind:     by_value
      - .offset:         152
        .size:           8
        .value_kind:     by_value
      - .offset:         160
        .size:           8
        .value_kind:     by_value
      - .offset:         168
        .size:           8
        .value_kind:     by_value
      - .offset:         176
        .size:           4
        .value_kind:     hidden_block_count_x
      - .offset:         180
        .size:           4
        .value_kind:     hidden_block_count_y
      - .offset:         184
        .size:           4
        .value_kind:     hidden_block_count_z
      - .offset:         188
        .size:           2
        .value_kind:     hidden_group_size_x
      - .offset:         190
        .size:           2
        .value_kind:     hidden_group_size_y
      - .offset:         192
        .size:           2
        .value_kind:     hidden_group_size_z
      - .offset:         194
        .size:           2
        .value_kind:     hidden_remainder_x
      - .offset:         196
        .size:           2
        .value_kind:     hidden_remainder_y
      - .offset:         198
        .size:           2
        .value_kind:     hidden_remainder_z
      - .offset:         216
        .size:           8
        .value_kind:     hidden_global_offset_x
      - .offset:         224
        .size:           8
        .value_kind:     hidden_global_offset_y
      - .offset:         232
        .size:           8
        .value_kind:     hidden_global_offset_z
      - .offset:         240
        .size:           2
        .value_kind:     hidden_grid_dims
    .group_segment_fixed_size: 0
    .kernarg_segment_align: 8
    .kernarg_segment_size: 432
    .language:       OpenCL C
    .language_version:
      - 2
      - 0
    .max_flat_workgroup_size: 1024
    .name:           _ZN9rocsolver6v33100L11gemm_kernelI19rocblas_complex_numIfElPKS3_PKPS3_S6_S6_EEvT0_S9_S9_T1_bT2_lS9_S9_lbT3_lS9_S9_lSA_T4_lS9_S9_l
    .private_segment_fixed_size: 0
    .sgpr_count:     48
    .sgpr_spill_count: 0
    .symbol:         _ZN9rocsolver6v33100L11gemm_kernelI19rocblas_complex_numIfElPKS3_PKPS3_S6_S6_EEvT0_S9_S9_T1_bT2_lS9_S9_lbT3_lS9_S9_lSA_T4_lS9_S9_l.kd
    .uniform_work_group_size: 1
    .uses_dynamic_stack: false
    .vgpr_count:     17
    .vgpr_spill_count: 0
    .wavefront_size: 64
  - .agpr_count:     0
    .args:
      - .offset:         0
        .size:           8
        .value_kind:     by_value
      - .offset:         8
        .size:           8
        .value_kind:     by_value
      - .offset:         16
        .size:           8
        .value_kind:     by_value
      - .offset:         24
        .size:           8
        .value_kind:     by_value
      - .offset:         32
        .size:           1
        .value_kind:     by_value
      - .address_space:  global
        .offset:         40
        .size:           8
        .value_kind:     global_buffer
      - .offset:         48
        .size:           8
        .value_kind:     by_value
      - .offset:         56
        .size:           8
        .value_kind:     by_value
      - .offset:         64
        .size:           8
        .value_kind:     by_value
      - .offset:         72
        .size:           8
        .value_kind:     by_value
      - .offset:         80
        .size:           1
        .value_kind:     by_value
      - .address_space:  global
        .offset:         88
        .size:           8
        .value_kind:     global_buffer
      - .offset:         96
        .size:           8
        .value_kind:     by_value
      - .offset:         104
        .size:           8
        .value_kind:     by_value
      - .offset:         112
        .size:           8
        .value_kind:     by_value
      - .offset:         120
        .size:           8
        .value_kind:     by_value
      - .offset:         128
        .size:           8
        .value_kind:     by_value
      - .address_space:  global
        .offset:         136
        .size:           8
        .value_kind:     global_buffer
      - .offset:         144
        .size:           8
        .value_kind:     by_value
      - .offset:         152
        .size:           8
        .value_kind:     by_value
      - .offset:         160
        .size:           8
        .value_kind:     by_value
      - .offset:         168
        .size:           8
        .value_kind:     by_value
      - .offset:         176
        .size:           4
        .value_kind:     hidden_block_count_x
      - .offset:         180
        .size:           4
        .value_kind:     hidden_block_count_y
      - .offset:         184
        .size:           4
        .value_kind:     hidden_block_count_z
      - .offset:         188
        .size:           2
        .value_kind:     hidden_group_size_x
      - .offset:         190
        .size:           2
        .value_kind:     hidden_group_size_y
      - .offset:         192
        .size:           2
        .value_kind:     hidden_group_size_z
      - .offset:         194
        .size:           2
        .value_kind:     hidden_remainder_x
      - .offset:         196
        .size:           2
        .value_kind:     hidden_remainder_y
      - .offset:         198
        .size:           2
        .value_kind:     hidden_remainder_z
      - .offset:         216
        .size:           8
        .value_kind:     hidden_global_offset_x
      - .offset:         224
        .size:           8
        .value_kind:     hidden_global_offset_y
      - .offset:         232
        .size:           8
        .value_kind:     hidden_global_offset_z
      - .offset:         240
        .size:           2
        .value_kind:     hidden_grid_dims
    .group_segment_fixed_size: 0
    .kernarg_segment_align: 8
    .kernarg_segment_size: 432
    .language:       OpenCL C
    .language_version:
      - 2
      - 0
    .max_flat_workgroup_size: 1024
    .name:           _ZN9rocsolver6v33100L11gemm_kernelI19rocblas_complex_numIfElS3_PKPS3_S4_S4_EEvT0_S7_S7_T1_bT2_lS7_S7_lbT3_lS7_S7_lS8_T4_lS7_S7_l
    .private_segment_fixed_size: 0
    .sgpr_count:     36
    .sgpr_spill_count: 0
    .symbol:         _ZN9rocsolver6v33100L11gemm_kernelI19rocblas_complex_numIfElS3_PKPS3_S4_S4_EEvT0_S7_S7_T1_bT2_lS7_S7_lbT3_lS7_S7_lS8_T4_lS7_S7_l.kd
    .uniform_work_group_size: 1
    .uses_dynamic_stack: false
    .vgpr_count:     17
    .vgpr_spill_count: 0
    .wavefront_size: 64
  - .agpr_count:     0
    .args:
      - .offset:         0
        .size:           4
        .value_kind:     by_value
      - .offset:         4
        .size:           4
        .value_kind:     by_value
      - .offset:         8
        .size:           8
        .value_kind:     by_value
      - .offset:         16
        .size:           8
        .value_kind:     by_value
      - .offset:         24
        .size:           8
        .value_kind:     by_value
      - .address_space:  global
        .offset:         32
        .size:           8
        .value_kind:     global_buffer
      - .address_space:  global
        .offset:         40
        .size:           8
        .value_kind:     global_buffer
      - .offset:         48
        .size:           8
        .value_kind:     by_value
      - .offset:         56
        .size:           8
        .value_kind:     by_value
      - .offset:         64
        .size:           8
        .value_kind:     by_value
      - .offset:         72
        .size:           8
        .value_kind:     by_value
      - .address_space:  global
        .offset:         80
        .size:           8
        .value_kind:     global_buffer
      - .offset:         88
        .size:           8
        .value_kind:     by_value
      - .offset:         96
        .size:           8
        .value_kind:     by_value
      - .offset:         104
        .size:           8
        .value_kind:     by_value
      - .offset:         112
        .size:           8
        .value_kind:     by_value
      - .address_space:  global
        .offset:         120
        .size:           8
        .value_kind:     global_buffer
      - .address_space:  global
        .offset:         128
        .size:           8
        .value_kind:     global_buffer
      - .offset:         136
        .size:           8
        .value_kind:     by_value
      - .offset:         144
        .size:           8
        .value_kind:     by_value
      - .offset:         152
        .size:           8
        .value_kind:     by_value
      - .offset:         160
        .size:           8
        .value_kind:     by_value
      - .offset:         168
        .size:           4
        .value_kind:     hidden_block_count_x
      - .offset:         172
        .size:           4
        .value_kind:     hidden_block_count_y
      - .offset:         176
        .size:           4
        .value_kind:     hidden_block_count_z
      - .offset:         180
        .size:           2
        .value_kind:     hidden_group_size_x
      - .offset:         182
        .size:           2
        .value_kind:     hidden_group_size_y
      - .offset:         184
        .size:           2
        .value_kind:     hidden_group_size_z
      - .offset:         186
        .size:           2
        .value_kind:     hidden_remainder_x
      - .offset:         188
        .size:           2
        .value_kind:     hidden_remainder_y
      - .offset:         190
        .size:           2
        .value_kind:     hidden_remainder_z
      - .offset:         208
        .size:           8
        .value_kind:     hidden_global_offset_x
      - .offset:         216
        .size:           8
        .value_kind:     hidden_global_offset_y
      - .offset:         224
        .size:           8
        .value_kind:     hidden_global_offset_z
      - .offset:         232
        .size:           2
        .value_kind:     hidden_grid_dims
    .group_segment_fixed_size: 20480
    .kernarg_segment_align: 8
    .kernarg_segment_size: 424
    .language:       OpenCL C
    .language_version:
      - 2
      - 0
    .max_flat_workgroup_size: 1024
    .name:           _ZN9rocsolver6v33100L16mfma_gemm_kernelI19rocblas_complex_numIfElPKS3_PS3_PKS6_S6_EEv18rocblas_operation_S9_T0_SA_SA_T1_T2_lSA_SA_lT3_lSA_SA_lSB_T4_lSA_SA_l
    .private_segment_fixed_size: 0
    .sgpr_count:     60
    .sgpr_spill_count: 0
    .symbol:         _ZN9rocsolver6v33100L16mfma_gemm_kernelI19rocblas_complex_numIfElPKS3_PS3_PKS6_S6_EEv18rocblas_operation_S9_T0_SA_SA_T1_T2_lSA_SA_lT3_lSA_SA_lSB_T4_lSA_SA_l.kd
    .uniform_work_group_size: 1
    .uses_dynamic_stack: false
    .vgpr_count:     51
    .vgpr_spill_count: 0
    .wavefront_size: 64
  - .agpr_count:     0
    .args:
      - .offset:         0
        .size:           4
        .value_kind:     by_value
      - .offset:         4
        .size:           4
        .value_kind:     by_value
      - .offset:         8
        .size:           8
        .value_kind:     by_value
      - .offset:         16
        .size:           8
        .value_kind:     by_value
      - .offset:         24
        .size:           8
        .value_kind:     by_value
      - .offset:         32
        .size:           8
        .value_kind:     by_value
      - .address_space:  global
        .offset:         40
        .size:           8
        .value_kind:     global_buffer
      - .offset:         48
        .size:           8
        .value_kind:     by_value
      - .offset:         56
        .size:           8
        .value_kind:     by_value
      - .offset:         64
        .size:           8
        .value_kind:     by_value
      - .offset:         72
        .size:           8
        .value_kind:     by_value
      - .address_space:  global
        .offset:         80
        .size:           8
        .value_kind:     global_buffer
      - .offset:         88
        .size:           8
        .value_kind:     by_value
      - .offset:         96
        .size:           8
        .value_kind:     by_value
      - .offset:         104
        .size:           8
        .value_kind:     by_value
      - .offset:         112
        .size:           8
        .value_kind:     by_value
      - .offset:         120
        .size:           8
        .value_kind:     by_value
      - .address_space:  global
        .offset:         128
        .size:           8
        .value_kind:     global_buffer
      - .offset:         136
        .size:           8
        .value_kind:     by_value
      - .offset:         144
        .size:           8
        .value_kind:     by_value
      - .offset:         152
        .size:           8
        .value_kind:     by_value
      - .offset:         160
        .size:           8
        .value_kind:     by_value
      - .offset:         168
        .size:           4
        .value_kind:     hidden_block_count_x
      - .offset:         172
        .size:           4
        .value_kind:     hidden_block_count_y
      - .offset:         176
        .size:           4
        .value_kind:     hidden_block_count_z
      - .offset:         180
        .size:           2
        .value_kind:     hidden_group_size_x
      - .offset:         182
        .size:           2
        .value_kind:     hidden_group_size_y
      - .offset:         184
        .size:           2
        .value_kind:     hidden_group_size_z
      - .offset:         186
        .size:           2
        .value_kind:     hidden_remainder_x
      - .offset:         188
        .size:           2
        .value_kind:     hidden_remainder_y
      - .offset:         190
        .size:           2
        .value_kind:     hidden_remainder_z
      - .offset:         208
        .size:           8
        .value_kind:     hidden_global_offset_x
      - .offset:         216
        .size:           8
        .value_kind:     hidden_global_offset_y
      - .offset:         224
        .size:           8
        .value_kind:     hidden_global_offset_z
      - .offset:         232
        .size:           2
        .value_kind:     hidden_grid_dims
    .group_segment_fixed_size: 20480
    .kernarg_segment_align: 8
    .kernarg_segment_size: 424
    .language:       OpenCL C
    .language_version:
      - 2
      - 0
    .max_flat_workgroup_size: 1024
    .name:           _ZN9rocsolver6v33100L16mfma_gemm_kernelI19rocblas_complex_numIfElS3_PS3_PKS4_S4_EEv18rocblas_operation_S7_T0_S8_S8_T1_T2_lS8_S8_lT3_lS8_S8_lS9_T4_lS8_S8_l
    .private_segment_fixed_size: 0
    .sgpr_count:     52
    .sgpr_spill_count: 0
    .symbol:         _ZN9rocsolver6v33100L16mfma_gemm_kernelI19rocblas_complex_numIfElS3_PS3_PKS4_S4_EEv18rocblas_operation_S7_T0_S8_S8_T1_T2_lS8_S8_lT3_lS8_S8_lS9_T4_lS8_S8_l.kd
    .uniform_work_group_size: 1
    .uses_dynamic_stack: false
    .vgpr_count:     51
    .vgpr_spill_count: 0
    .wavefront_size: 64
  - .agpr_count:     0
    .args:
      - .offset:         0
        .size:           8
        .value_kind:     by_value
      - .offset:         8
        .size:           8
        .value_kind:     by_value
      - .offset:         16
        .size:           8
        .value_kind:     by_value
      - .address_space:  global
        .offset:         24
        .size:           8
        .value_kind:     global_buffer
      - .offset:         32
        .size:           1
        .value_kind:     by_value
      - .address_space:  global
        .offset:         40
        .size:           8
        .value_kind:     global_buffer
      - .offset:         48
        .size:           8
        .value_kind:     by_value
      - .offset:         56
        .size:           8
        .value_kind:     by_value
      - .offset:         64
        .size:           8
        .value_kind:     by_value
      - .offset:         72
        .size:           8
        .value_kind:     by_value
      - .offset:         80
        .size:           1
        .value_kind:     by_value
      - .address_space:  global
        .offset:         88
        .size:           8
        .value_kind:     global_buffer
      - .offset:         96
        .size:           8
        .value_kind:     by_value
      - .offset:         104
        .size:           8
        .value_kind:     by_value
      - .offset:         112
        .size:           8
        .value_kind:     by_value
      - .offset:         120
        .size:           8
        .value_kind:     by_value
      - .address_space:  global
        .offset:         128
        .size:           8
        .value_kind:     global_buffer
      - .address_space:  global
        .offset:         136
        .size:           8
        .value_kind:     global_buffer
      - .offset:         144
        .size:           8
        .value_kind:     by_value
      - .offset:         152
        .size:           8
        .value_kind:     by_value
      - .offset:         160
        .size:           8
        .value_kind:     by_value
      - .offset:         168
        .size:           8
        .value_kind:     by_value
      - .offset:         176
        .size:           4
        .value_kind:     hidden_block_count_x
      - .offset:         180
        .size:           4
        .value_kind:     hidden_block_count_y
      - .offset:         184
        .size:           4
        .value_kind:     hidden_block_count_z
      - .offset:         188
        .size:           2
        .value_kind:     hidden_group_size_x
      - .offset:         190
        .size:           2
        .value_kind:     hidden_group_size_y
      - .offset:         192
        .size:           2
        .value_kind:     hidden_group_size_z
      - .offset:         194
        .size:           2
        .value_kind:     hidden_remainder_x
      - .offset:         196
        .size:           2
        .value_kind:     hidden_remainder_y
      - .offset:         198
        .size:           2
        .value_kind:     hidden_remainder_z
      - .offset:         216
        .size:           8
        .value_kind:     hidden_global_offset_x
      - .offset:         224
        .size:           8
        .value_kind:     hidden_global_offset_y
      - .offset:         232
        .size:           8
        .value_kind:     hidden_global_offset_z
      - .offset:         240
        .size:           2
        .value_kind:     hidden_grid_dims
    .group_segment_fixed_size: 0
    .kernarg_segment_align: 8
    .kernarg_segment_size: 432
    .language:       OpenCL C
    .language_version:
      - 2
      - 0
    .max_flat_workgroup_size: 1024
    .name:           _ZN9rocsolver6v33100L11gemm_kernelI19rocblas_complex_numIfElPKS3_PS3_PKS6_S6_EEvT0_S9_S9_T1_bT2_lS9_S9_lbT3_lS9_S9_lSA_T4_lS9_S9_l
    .private_segment_fixed_size: 0
    .sgpr_count:     48
    .sgpr_spill_count: 0
    .symbol:         _ZN9rocsolver6v33100L11gemm_kernelI19rocblas_complex_numIfElPKS3_PS3_PKS6_S6_EEvT0_S9_S9_T1_bT2_lS9_S9_lbT3_lS9_S9_lSA_T4_lS9_S9_l.kd
    .uniform_work_group_size: 1
    .uses_dynamic_stack: false
    .vgpr_count:     17
    .vgpr_spill_count: 0
    .wavefront_size: 64
  - .agpr_count:     0
    .args:
      - .offset:         0
        .size:           8
        .value_kind:     by_value
      - .offset:         8
        .size:           8
        .value_kind:     by_value
      - .offset:         16
        .size:           8
        .value_kind:     by_value
      - .offset:         24
        .size:           8
        .value_kind:     by_value
      - .offset:         32
        .size:           1
        .value_kind:     by_value
      - .address_space:  global
        .offset:         40
        .size:           8
        .value_kind:     global_buffer
      - .offset:         48
        .size:           8
        .value_kind:     by_value
      - .offset:         56
        .size:           8
        .value_kind:     by_value
      - .offset:         64
        .size:           8
        .value_kind:     by_value
      - .offset:         72
        .size:           8
        .value_kind:     by_value
      - .offset:         80
        .size:           1
        .value_kind:     by_value
      - .address_space:  global
        .offset:         88
        .size:           8
        .value_kind:     global_buffer
      - .offset:         96
        .size:           8
        .value_kind:     by_value
      - .offset:         104
        .size:           8
        .value_kind:     by_value
      - .offset:         112
        .size:           8
        .value_kind:     by_value
      - .offset:         120
        .size:           8
        .value_kind:     by_value
      - .offset:         128
        .size:           8
        .value_kind:     by_value
      - .address_space:  global
        .offset:         136
        .size:           8
        .value_kind:     global_buffer
      - .offset:         144
        .size:           8
        .value_kind:     by_value
      - .offset:         152
        .size:           8
        .value_kind:     by_value
      - .offset:         160
        .size:           8
        .value_kind:     by_value
      - .offset:         168
        .size:           8
        .value_kind:     by_value
      - .offset:         176
        .size:           4
        .value_kind:     hidden_block_count_x
      - .offset:         180
        .size:           4
        .value_kind:     hidden_block_count_y
      - .offset:         184
        .size:           4
        .value_kind:     hidden_block_count_z
      - .offset:         188
        .size:           2
        .value_kind:     hidden_group_size_x
      - .offset:         190
        .size:           2
        .value_kind:     hidden_group_size_y
      - .offset:         192
        .size:           2
        .value_kind:     hidden_group_size_z
      - .offset:         194
        .size:           2
        .value_kind:     hidden_remainder_x
      - .offset:         196
        .size:           2
        .value_kind:     hidden_remainder_y
      - .offset:         198
        .size:           2
        .value_kind:     hidden_remainder_z
      - .offset:         216
        .size:           8
        .value_kind:     hidden_global_offset_x
      - .offset:         224
        .size:           8
        .value_kind:     hidden_global_offset_y
      - .offset:         232
        .size:           8
        .value_kind:     hidden_global_offset_z
      - .offset:         240
        .size:           2
        .value_kind:     hidden_grid_dims
    .group_segment_fixed_size: 0
    .kernarg_segment_align: 8
    .kernarg_segment_size: 432
    .language:       OpenCL C
    .language_version:
      - 2
      - 0
    .max_flat_workgroup_size: 1024
    .name:           _ZN9rocsolver6v33100L11gemm_kernelI19rocblas_complex_numIfElS3_PS3_PKS4_S4_EEvT0_S7_S7_T1_bT2_lS7_S7_lbT3_lS7_S7_lS8_T4_lS7_S7_l
    .private_segment_fixed_size: 0
    .sgpr_count:     38
    .sgpr_spill_count: 0
    .symbol:         _ZN9rocsolver6v33100L11gemm_kernelI19rocblas_complex_numIfElS3_PS3_PKS4_S4_EEvT0_S7_S7_T1_bT2_lS7_S7_lbT3_lS7_S7_lS8_T4_lS7_S7_l.kd
    .uniform_work_group_size: 1
    .uses_dynamic_stack: false
    .vgpr_count:     17
    .vgpr_spill_count: 0
    .wavefront_size: 64
  - .agpr_count:     0
    .args:
      - .offset:         0
        .size:           4
        .value_kind:     by_value
      - .offset:         4
        .size:           4
        .value_kind:     by_value
      - .offset:         8
        .size:           8
        .value_kind:     by_value
      - .offset:         16
        .size:           8
        .value_kind:     by_value
      - .offset:         24
        .size:           8
        .value_kind:     by_value
      - .address_space:  global
        .offset:         32
        .size:           8
        .value_kind:     global_buffer
      - .address_space:  global
        .offset:         40
        .size:           8
        .value_kind:     global_buffer
      - .offset:         48
        .size:           8
        .value_kind:     by_value
      - .offset:         56
        .size:           8
        .value_kind:     by_value
      - .offset:         64
        .size:           8
        .value_kind:     by_value
      - .offset:         72
        .size:           8
        .value_kind:     by_value
      - .address_space:  global
        .offset:         80
        .size:           8
        .value_kind:     global_buffer
      - .offset:         88
        .size:           8
        .value_kind:     by_value
      - .offset:         96
        .size:           8
        .value_kind:     by_value
      - .offset:         104
        .size:           8
        .value_kind:     by_value
      - .offset:         112
        .size:           8
        .value_kind:     by_value
      - .address_space:  global
        .offset:         120
        .size:           8
        .value_kind:     global_buffer
      - .address_space:  global
        .offset:         128
        .size:           8
        .value_kind:     global_buffer
      - .offset:         136
        .size:           8
        .value_kind:     by_value
      - .offset:         144
        .size:           8
        .value_kind:     by_value
      - .offset:         152
        .size:           8
        .value_kind:     by_value
      - .offset:         160
        .size:           8
        .value_kind:     by_value
      - .offset:         168
        .size:           4
        .value_kind:     hidden_block_count_x
      - .offset:         172
        .size:           4
        .value_kind:     hidden_block_count_y
      - .offset:         176
        .size:           4
        .value_kind:     hidden_block_count_z
      - .offset:         180
        .size:           2
        .value_kind:     hidden_group_size_x
      - .offset:         182
        .size:           2
        .value_kind:     hidden_group_size_y
      - .offset:         184
        .size:           2
        .value_kind:     hidden_group_size_z
      - .offset:         186
        .size:           2
        .value_kind:     hidden_remainder_x
      - .offset:         188
        .size:           2
        .value_kind:     hidden_remainder_y
      - .offset:         190
        .size:           2
        .value_kind:     hidden_remainder_z
      - .offset:         208
        .size:           8
        .value_kind:     hidden_global_offset_x
      - .offset:         216
        .size:           8
        .value_kind:     hidden_global_offset_y
      - .offset:         224
        .size:           8
        .value_kind:     hidden_global_offset_z
      - .offset:         232
        .size:           2
        .value_kind:     hidden_grid_dims
    .group_segment_fixed_size: 20480
    .kernarg_segment_align: 8
    .kernarg_segment_size: 424
    .language:       OpenCL C
    .language_version:
      - 2
      - 0
    .max_flat_workgroup_size: 1024
    .name:           _ZN9rocsolver6v33100L16mfma_gemm_kernelI19rocblas_complex_numIfElPKS3_PS3_S6_PKS6_EEv18rocblas_operation_S9_T0_SA_SA_T1_T2_lSA_SA_lT3_lSA_SA_lSB_T4_lSA_SA_l
    .private_segment_fixed_size: 0
    .sgpr_count:     58
    .sgpr_spill_count: 0
    .symbol:         _ZN9rocsolver6v33100L16mfma_gemm_kernelI19rocblas_complex_numIfElPKS3_PS3_S6_PKS6_EEv18rocblas_operation_S9_T0_SA_SA_T1_T2_lSA_SA_lT3_lSA_SA_lSB_T4_lSA_SA_l.kd
    .uniform_work_group_size: 1
    .uses_dynamic_stack: false
    .vgpr_count:     51
    .vgpr_spill_count: 0
    .wavefront_size: 64
  - .agpr_count:     0
    .args:
      - .offset:         0
        .size:           4
        .value_kind:     by_value
      - .offset:         4
        .size:           4
        .value_kind:     by_value
      - .offset:         8
        .size:           8
        .value_kind:     by_value
      - .offset:         16
        .size:           8
        .value_kind:     by_value
      - .offset:         24
        .size:           8
        .value_kind:     by_value
      - .offset:         32
        .size:           8
        .value_kind:     by_value
      - .address_space:  global
        .offset:         40
        .size:           8
        .value_kind:     global_buffer
      - .offset:         48
        .size:           8
        .value_kind:     by_value
      - .offset:         56
        .size:           8
        .value_kind:     by_value
      - .offset:         64
        .size:           8
        .value_kind:     by_value
      - .offset:         72
        .size:           8
        .value_kind:     by_value
      - .address_space:  global
        .offset:         80
        .size:           8
        .value_kind:     global_buffer
      - .offset:         88
        .size:           8
        .value_kind:     by_value
      - .offset:         96
        .size:           8
        .value_kind:     by_value
      - .offset:         104
        .size:           8
        .value_kind:     by_value
      - .offset:         112
        .size:           8
        .value_kind:     by_value
      - .offset:         120
        .size:           8
        .value_kind:     by_value
      - .address_space:  global
        .offset:         128
        .size:           8
        .value_kind:     global_buffer
      - .offset:         136
        .size:           8
        .value_kind:     by_value
      - .offset:         144
        .size:           8
        .value_kind:     by_value
      - .offset:         152
        .size:           8
        .value_kind:     by_value
      - .offset:         160
        .size:           8
        .value_kind:     by_value
      - .offset:         168
        .size:           4
        .value_kind:     hidden_block_count_x
      - .offset:         172
        .size:           4
        .value_kind:     hidden_block_count_y
      - .offset:         176
        .size:           4
        .value_kind:     hidden_block_count_z
      - .offset:         180
        .size:           2
        .value_kind:     hidden_group_size_x
      - .offset:         182
        .size:           2
        .value_kind:     hidden_group_size_y
      - .offset:         184
        .size:           2
        .value_kind:     hidden_group_size_z
      - .offset:         186
        .size:           2
        .value_kind:     hidden_remainder_x
      - .offset:         188
        .size:           2
        .value_kind:     hidden_remainder_y
      - .offset:         190
        .size:           2
        .value_kind:     hidden_remainder_z
      - .offset:         208
        .size:           8
        .value_kind:     hidden_global_offset_x
      - .offset:         216
        .size:           8
        .value_kind:     hidden_global_offset_y
      - .offset:         224
        .size:           8
        .value_kind:     hidden_global_offset_z
      - .offset:         232
        .size:           2
        .value_kind:     hidden_grid_dims
    .group_segment_fixed_size: 20480
    .kernarg_segment_align: 8
    .kernarg_segment_size: 424
    .language:       OpenCL C
    .language_version:
      - 2
      - 0
    .max_flat_workgroup_size: 1024
    .name:           _ZN9rocsolver6v33100L16mfma_gemm_kernelI19rocblas_complex_numIfElS3_PS3_S4_PKS4_EEv18rocblas_operation_S7_T0_S8_S8_T1_T2_lS8_S8_lT3_lS8_S8_lS9_T4_lS8_S8_l
    .private_segment_fixed_size: 0
    .sgpr_count:     62
    .sgpr_spill_count: 0
    .symbol:         _ZN9rocsolver6v33100L16mfma_gemm_kernelI19rocblas_complex_numIfElS3_PS3_S4_PKS4_EEv18rocblas_operation_S7_T0_S8_S8_T1_T2_lS8_S8_lT3_lS8_S8_lS9_T4_lS8_S8_l.kd
    .uniform_work_group_size: 1
    .uses_dynamic_stack: false
    .vgpr_count:     51
    .vgpr_spill_count: 0
    .wavefront_size: 64
  - .agpr_count:     0
    .args:
      - .offset:         0
        .size:           8
        .value_kind:     by_value
      - .offset:         8
        .size:           8
        .value_kind:     by_value
      - .offset:         16
        .size:           8
        .value_kind:     by_value
      - .address_space:  global
        .offset:         24
        .size:           8
        .value_kind:     global_buffer
      - .offset:         32
        .size:           1
        .value_kind:     by_value
      - .address_space:  global
        .offset:         40
        .size:           8
        .value_kind:     global_buffer
      - .offset:         48
        .size:           8
        .value_kind:     by_value
      - .offset:         56
        .size:           8
        .value_kind:     by_value
      - .offset:         64
        .size:           8
        .value_kind:     by_value
      - .offset:         72
        .size:           8
        .value_kind:     by_value
      - .offset:         80
        .size:           1
        .value_kind:     by_value
      - .address_space:  global
        .offset:         88
        .size:           8
        .value_kind:     global_buffer
      - .offset:         96
        .size:           8
        .value_kind:     by_value
      - .offset:         104
        .size:           8
        .value_kind:     by_value
      - .offset:         112
        .size:           8
        .value_kind:     by_value
      - .offset:         120
        .size:           8
        .value_kind:     by_value
      - .address_space:  global
        .offset:         128
        .size:           8
        .value_kind:     global_buffer
      - .address_space:  global
        .offset:         136
        .size:           8
        .value_kind:     global_buffer
      - .offset:         144
        .size:           8
        .value_kind:     by_value
      - .offset:         152
        .size:           8
        .value_kind:     by_value
      - .offset:         160
        .size:           8
        .value_kind:     by_value
      - .offset:         168
        .size:           8
        .value_kind:     by_value
      - .offset:         176
        .size:           4
        .value_kind:     hidden_block_count_x
      - .offset:         180
        .size:           4
        .value_kind:     hidden_block_count_y
      - .offset:         184
        .size:           4
        .value_kind:     hidden_block_count_z
      - .offset:         188
        .size:           2
        .value_kind:     hidden_group_size_x
      - .offset:         190
        .size:           2
        .value_kind:     hidden_group_size_y
      - .offset:         192
        .size:           2
        .value_kind:     hidden_group_size_z
      - .offset:         194
        .size:           2
        .value_kind:     hidden_remainder_x
      - .offset:         196
        .size:           2
        .value_kind:     hidden_remainder_y
      - .offset:         198
        .size:           2
        .value_kind:     hidden_remainder_z
      - .offset:         216
        .size:           8
        .value_kind:     hidden_global_offset_x
      - .offset:         224
        .size:           8
        .value_kind:     hidden_global_offset_y
      - .offset:         232
        .size:           8
        .value_kind:     hidden_global_offset_z
      - .offset:         240
        .size:           2
        .value_kind:     hidden_grid_dims
    .group_segment_fixed_size: 0
    .kernarg_segment_align: 8
    .kernarg_segment_size: 432
    .language:       OpenCL C
    .language_version:
      - 2
      - 0
    .max_flat_workgroup_size: 1024
    .name:           _ZN9rocsolver6v33100L11gemm_kernelI19rocblas_complex_numIfElPKS3_PS3_S6_PKS6_EEvT0_S9_S9_T1_bT2_lS9_S9_lbT3_lS9_S9_lSA_T4_lS9_S9_l
    .private_segment_fixed_size: 0
    .sgpr_count:     48
    .sgpr_spill_count: 0
    .symbol:         _ZN9rocsolver6v33100L11gemm_kernelI19rocblas_complex_numIfElPKS3_PS3_S6_PKS6_EEvT0_S9_S9_T1_bT2_lS9_S9_lbT3_lS9_S9_lSA_T4_lS9_S9_l.kd
    .uniform_work_group_size: 1
    .uses_dynamic_stack: false
    .vgpr_count:     17
    .vgpr_spill_count: 0
    .wavefront_size: 64
  - .agpr_count:     0
    .args:
      - .offset:         0
        .size:           8
        .value_kind:     by_value
      - .offset:         8
        .size:           8
        .value_kind:     by_value
      - .offset:         16
        .size:           8
        .value_kind:     by_value
      - .offset:         24
        .size:           8
        .value_kind:     by_value
      - .offset:         32
        .size:           1
        .value_kind:     by_value
      - .address_space:  global
        .offset:         40
        .size:           8
        .value_kind:     global_buffer
      - .offset:         48
        .size:           8
        .value_kind:     by_value
      - .offset:         56
        .size:           8
        .value_kind:     by_value
      - .offset:         64
        .size:           8
        .value_kind:     by_value
      - .offset:         72
        .size:           8
        .value_kind:     by_value
      - .offset:         80
        .size:           1
        .value_kind:     by_value
      - .address_space:  global
        .offset:         88
        .size:           8
        .value_kind:     global_buffer
      - .offset:         96
        .size:           8
        .value_kind:     by_value
      - .offset:         104
        .size:           8
        .value_kind:     by_value
      - .offset:         112
        .size:           8
        .value_kind:     by_value
      - .offset:         120
        .size:           8
        .value_kind:     by_value
      - .offset:         128
        .size:           8
        .value_kind:     by_value
      - .address_space:  global
        .offset:         136
        .size:           8
        .value_kind:     global_buffer
      - .offset:         144
        .size:           8
        .value_kind:     by_value
      - .offset:         152
        .size:           8
        .value_kind:     by_value
      - .offset:         160
        .size:           8
        .value_kind:     by_value
      - .offset:         168
        .size:           8
        .value_kind:     by_value
      - .offset:         176
        .size:           4
        .value_kind:     hidden_block_count_x
      - .offset:         180
        .size:           4
        .value_kind:     hidden_block_count_y
      - .offset:         184
        .size:           4
        .value_kind:     hidden_block_count_z
      - .offset:         188
        .size:           2
        .value_kind:     hidden_group_size_x
      - .offset:         190
        .size:           2
        .value_kind:     hidden_group_size_y
      - .offset:         192
        .size:           2
        .value_kind:     hidden_group_size_z
      - .offset:         194
        .size:           2
        .value_kind:     hidden_remainder_x
      - .offset:         196
        .size:           2
        .value_kind:     hidden_remainder_y
      - .offset:         198
        .size:           2
        .value_kind:     hidden_remainder_z
      - .offset:         216
        .size:           8
        .value_kind:     hidden_global_offset_x
      - .offset:         224
        .size:           8
        .value_kind:     hidden_global_offset_y
      - .offset:         232
        .size:           8
        .value_kind:     hidden_global_offset_z
      - .offset:         240
        .size:           2
        .value_kind:     hidden_grid_dims
    .group_segment_fixed_size: 0
    .kernarg_segment_align: 8
    .kernarg_segment_size: 432
    .language:       OpenCL C
    .language_version:
      - 2
      - 0
    .max_flat_workgroup_size: 1024
    .name:           _ZN9rocsolver6v33100L11gemm_kernelI19rocblas_complex_numIfElS3_PS3_S4_PKS4_EEvT0_S7_S7_T1_bT2_lS7_S7_lbT3_lS7_S7_lS8_T4_lS7_S7_l
    .private_segment_fixed_size: 0
    .sgpr_count:     48
    .sgpr_spill_count: 0
    .symbol:         _ZN9rocsolver6v33100L11gemm_kernelI19rocblas_complex_numIfElS3_PS3_S4_PKS4_EEvT0_S7_S7_T1_bT2_lS7_S7_lbT3_lS7_S7_lS8_T4_lS7_S7_l.kd
    .uniform_work_group_size: 1
    .uses_dynamic_stack: false
    .vgpr_count:     17
    .vgpr_spill_count: 0
    .wavefront_size: 64
amdhsa.target:   amdgcn-amd-amdhsa--gfx90a
amdhsa.version:
  - 1
  - 2
...

	.end_amdgpu_metadata
